;; amdgpu-corpus repo=ROCm/rocFFT kind=compiled arch=gfx1030 opt=O3
	.text
	.amdgcn_target "amdgcn-amd-amdhsa--gfx1030"
	.amdhsa_code_object_version 6
	.protected	bluestein_single_back_len637_dim1_half_op_CI_CI ; -- Begin function bluestein_single_back_len637_dim1_half_op_CI_CI
	.globl	bluestein_single_back_len637_dim1_half_op_CI_CI
	.p2align	8
	.type	bluestein_single_back_len637_dim1_half_op_CI_CI,@function
bluestein_single_back_len637_dim1_half_op_CI_CI: ; @bluestein_single_back_len637_dim1_half_op_CI_CI
; %bb.0:
	s_load_dwordx4 s[0:3], s[4:5], 0x28
	v_mul_u32_u24_e32 v1, 0x2d1, v0
	v_mov_b32_e32 v9, 0
	v_lshrrev_b32_e32 v1, 16, v1
	v_add_nc_u32_e32 v8, s6, v1
	s_waitcnt lgkmcnt(0)
	v_cmp_gt_u64_e32 vcc_lo, s[0:1], v[8:9]
	s_and_saveexec_b32 s0, vcc_lo
	s_cbranch_execz .LBB0_15
; %bb.1:
	s_clause 0x1
	s_load_dwordx2 s[20:21], s[4:5], 0x0
	s_load_dwordx2 s[8:9], s[4:5], 0x38
	v_mul_lo_u16 v1, 0x5b, v1
	v_sub_nc_u16 v0, v0, v1
	v_and_b32_e32 v26, 0xffff, v0
	v_cmp_gt_u16_e32 vcc_lo, 49, v0
	v_lshlrev_b32_e32 v25, 2, v26
	s_and_saveexec_b32 s1, vcc_lo
	s_cbranch_execz .LBB0_3
; %bb.2:
	s_load_dwordx2 s[6:7], s[4:5], 0x18
	v_add_nc_u32_e32 v33, 0x400, v25
	s_waitcnt lgkmcnt(0)
	s_load_dwordx4 s[12:15], s[6:7], 0x0
	s_waitcnt lgkmcnt(0)
	v_mad_u64_u32 v[0:1], null, s14, v8, 0
	v_mad_u64_u32 v[2:3], null, s12, v26, 0
	;; [unrolled: 1-line block ×4, first 2 shown]
	v_mov_b32_e32 v1, v4
	v_lshlrev_b64 v[0:1], 2, v[0:1]
	v_mov_b32_e32 v3, v5
	v_add_co_u32 v0, s0, s2, v0
	v_lshlrev_b64 v[2:3], 2, v[2:3]
	v_add_co_ci_u32_e64 v1, s0, s3, v1, s0
	v_add_co_u32 v4, s0, s20, v25
	v_add_co_ci_u32_e64 v5, null, s21, 0, s0
	v_add_co_u32 v0, s0, v0, v2
	v_add_co_ci_u32_e64 v1, s0, v1, v3, s0
	s_mul_i32 s0, s13, 0xc4
	s_mul_hi_u32 s2, s12, 0xc4
	s_mul_i32 s3, s12, 0xc4
	s_add_i32 s2, s2, s0
	global_load_dword v6, v[0:1], off
	v_add_co_u32 v0, s0, v0, s3
	v_add_co_ci_u32_e64 v1, s0, s2, v1, s0
	s_clause 0x3
	global_load_dword v7, v25, s[20:21]
	global_load_dword v9, v25, s[20:21] offset:196
	global_load_dword v10, v25, s[20:21] offset:392
	;; [unrolled: 1-line block ×3, first 2 shown]
	v_add_co_u32 v2, s0, v0, s3
	v_add_co_ci_u32_e64 v3, s0, s2, v1, s0
	s_clause 0x1
	global_load_dword v12, v[0:1], off
	global_load_dword v13, v[2:3], off
	v_add_co_u32 v0, s0, v2, s3
	v_add_co_ci_u32_e64 v1, s0, s2, v3, s0
	v_add_co_u32 v2, s0, v0, s3
	v_add_co_ci_u32_e64 v3, s0, s2, v1, s0
	global_load_dword v14, v[0:1], off
	v_add_co_u32 v0, s0, v2, s3
	v_add_co_ci_u32_e64 v1, s0, s2, v3, s0
	s_clause 0x3
	global_load_dword v15, v25, s[20:21] offset:784
	global_load_dword v16, v25, s[20:21] offset:980
	;; [unrolled: 1-line block ×4, first 2 shown]
	global_load_dword v19, v[2:3], off
	global_load_dword v20, v[0:1], off
	v_add_co_u32 v0, s0, v0, s3
	v_add_co_ci_u32_e64 v1, s0, s2, v1, s0
	s_clause 0x2
	global_load_dword v21, v25, s[20:21] offset:1568
	global_load_dword v22, v25, s[20:21] offset:1764
	;; [unrolled: 1-line block ×3, first 2 shown]
	v_add_co_u32 v2, s0, v0, s3
	v_add_co_ci_u32_e64 v3, s0, s2, v1, s0
	global_load_dword v24, v[0:1], off
	v_add_co_u32 v0, s0, v2, s3
	v_add_co_ci_u32_e64 v1, s0, s2, v3, s0
	global_load_dword v27, v[2:3], off
	;; [unrolled: 3-line block ×5, first 2 shown]
	v_add_co_u32 v0, s0, v2, s3
	v_add_co_ci_u32_e64 v1, s0, s2, v3, s0
	v_add_co_u32 v4, s0, 0x800, v4
	v_add_co_ci_u32_e64 v5, s0, 0, v5, s0
	global_load_dword v2, v[2:3], off
	global_load_dword v0, v[0:1], off
	s_clause 0x1
	global_load_dword v1, v[4:5], off offset:108
	global_load_dword v3, v[4:5], off offset:304
	s_waitcnt vmcnt(25)
	v_lshrrev_b32_e32 v4, 16, v6
	s_waitcnt vmcnt(24)
	v_mul_f16_sdwa v5, v7, v6 dst_sel:DWORD dst_unused:UNUSED_PAD src0_sel:WORD_1 src1_sel:DWORD
	v_mul_f16_sdwa v31, v7, v4 dst_sel:DWORD dst_unused:UNUSED_PAD src0_sel:WORD_1 src1_sel:DWORD
	v_fma_f16 v4, v7, v4, -v5
	s_waitcnt vmcnt(20)
	v_lshrrev_b32_e32 v32, 16, v12
	v_mul_f16_sdwa v34, v9, v12 dst_sel:DWORD dst_unused:UNUSED_PAD src0_sel:WORD_1 src1_sel:DWORD
	v_fmac_f16_e32 v31, v7, v6
	s_waitcnt vmcnt(19)
	v_lshrrev_b32_e32 v6, 16, v13
	v_mul_f16_sdwa v5, v9, v32 dst_sel:DWORD dst_unused:UNUSED_PAD src0_sel:WORD_1 src1_sel:DWORD
	v_fma_f16 v7, v9, v32, -v34
	v_mul_f16_sdwa v32, v10, v13 dst_sel:DWORD dst_unused:UNUSED_PAD src0_sel:WORD_1 src1_sel:DWORD
	v_pack_b32_f16 v4, v31, v4
	v_fmac_f16_e32 v5, v9, v12
	v_mul_f16_sdwa v9, v10, v6 dst_sel:DWORD dst_unused:UNUSED_PAD src0_sel:WORD_1 src1_sel:DWORD
	v_fma_f16 v6, v10, v6, -v32
	s_waitcnt vmcnt(18)
	v_lshrrev_b32_e32 v12, 16, v14
	v_mul_f16_sdwa v31, v11, v14 dst_sel:DWORD dst_unused:UNUSED_PAD src0_sel:WORD_1 src1_sel:DWORD
	v_pack_b32_f16 v5, v5, v7
	v_fmac_f16_e32 v9, v10, v13
	s_waitcnt vmcnt(13)
	v_mul_f16_sdwa v13, v15, v19 dst_sel:DWORD dst_unused:UNUSED_PAD src0_sel:WORD_1 src1_sel:DWORD
	v_mul_f16_sdwa v7, v11, v12 dst_sel:DWORD dst_unused:UNUSED_PAD src0_sel:WORD_1 src1_sel:DWORD
	v_fma_f16 v10, v11, v12, -v31
	v_lshrrev_b32_e32 v12, 16, v19
	ds_write2_b32 v25, v4, v5 offset1:49
	v_pack_b32_f16 v4, v9, v6
	v_fmac_f16_e32 v7, v11, v14
	s_waitcnt vmcnt(12)
	v_lshrrev_b32_e32 v6, 16, v20
	v_mul_f16_sdwa v5, v15, v12 dst_sel:DWORD dst_unused:UNUSED_PAD src0_sel:WORD_1 src1_sel:DWORD
	v_mul_f16_sdwa v9, v16, v20 dst_sel:DWORD dst_unused:UNUSED_PAD src0_sel:WORD_1 src1_sel:DWORD
	v_fma_f16 v11, v15, v12, -v13
	v_pack_b32_f16 v7, v7, v10
	v_mul_f16_sdwa v10, v16, v6 dst_sel:DWORD dst_unused:UNUSED_PAD src0_sel:WORD_1 src1_sel:DWORD
	v_fmac_f16_e32 v5, v15, v19
	v_fma_f16 v6, v16, v6, -v9
	s_waitcnt vmcnt(8)
	v_lshrrev_b32_e32 v9, 16, v24
	v_mul_f16_sdwa v12, v17, v24 dst_sel:DWORD dst_unused:UNUSED_PAD src0_sel:WORD_1 src1_sel:DWORD
	ds_write2_b32 v25, v4, v7 offset0:98 offset1:147
	v_pack_b32_f16 v4, v5, v11
	v_fmac_f16_e32 v10, v16, v20
	v_mul_f16_sdwa v5, v17, v9 dst_sel:DWORD dst_unused:UNUSED_PAD src0_sel:WORD_1 src1_sel:DWORD
	s_waitcnt vmcnt(7)
	v_lshrrev_b32_e32 v7, 16, v27
	v_fma_f16 v9, v17, v9, -v12
	v_mul_f16_sdwa v11, v18, v27 dst_sel:DWORD dst_unused:UNUSED_PAD src0_sel:WORD_1 src1_sel:DWORD
	s_waitcnt vmcnt(6)
	v_lshrrev_b32_e32 v12, 16, v28
	v_fmac_f16_e32 v5, v17, v24
	v_pack_b32_f16 v6, v10, v6
	v_mul_f16_sdwa v10, v18, v7 dst_sel:DWORD dst_unused:UNUSED_PAD src0_sel:WORD_1 src1_sel:DWORD
	v_fma_f16 v7, v18, v7, -v11
	v_mul_f16_sdwa v11, v21, v28 dst_sel:DWORD dst_unused:UNUSED_PAD src0_sel:WORD_1 src1_sel:DWORD
	v_pack_b32_f16 v5, v5, v9
	v_mul_f16_sdwa v9, v21, v12 dst_sel:DWORD dst_unused:UNUSED_PAD src0_sel:WORD_1 src1_sel:DWORD
	v_fmac_f16_e32 v10, v18, v27
	s_waitcnt vmcnt(5)
	v_lshrrev_b32_e32 v13, 16, v29
	v_mul_f16_sdwa v14, v22, v29 dst_sel:DWORD dst_unused:UNUSED_PAD src0_sel:WORD_1 src1_sel:DWORD
	v_fma_f16 v11, v21, v12, -v11
	v_fmac_f16_e32 v9, v21, v28
	v_pack_b32_f16 v7, v10, v7
	v_mul_f16_sdwa v10, v22, v13 dst_sel:DWORD dst_unused:UNUSED_PAD src0_sel:WORD_1 src1_sel:DWORD
	v_fma_f16 v12, v22, v13, -v14
	s_waitcnt vmcnt(4)
	v_lshrrev_b32_e32 v13, 16, v30
	v_mul_f16_sdwa v14, v23, v30 dst_sel:DWORD dst_unused:UNUSED_PAD src0_sel:WORD_1 src1_sel:DWORD
	v_pack_b32_f16 v9, v9, v11
	s_waitcnt vmcnt(3)
	v_lshrrev_b32_e32 v11, 16, v2
	s_waitcnt vmcnt(2)
	v_lshrrev_b32_e32 v15, 16, v0
	v_mul_f16_sdwa v16, v23, v13 dst_sel:DWORD dst_unused:UNUSED_PAD src0_sel:WORD_1 src1_sel:DWORD
	v_fma_f16 v13, v23, v13, -v14
	s_waitcnt vmcnt(1)
	v_mul_f16_sdwa v14, v1, v2 dst_sel:DWORD dst_unused:UNUSED_PAD src0_sel:WORD_1 src1_sel:DWORD
	v_mul_f16_sdwa v17, v1, v11 dst_sel:DWORD dst_unused:UNUSED_PAD src0_sel:WORD_1 src1_sel:DWORD
	s_waitcnt vmcnt(0)
	v_mul_f16_sdwa v18, v3, v15 dst_sel:DWORD dst_unused:UNUSED_PAD src0_sel:WORD_1 src1_sel:DWORD
	v_mul_f16_sdwa v19, v3, v0 dst_sel:DWORD dst_unused:UNUSED_PAD src0_sel:WORD_1 src1_sel:DWORD
	v_fmac_f16_e32 v10, v22, v29
	v_fmac_f16_e32 v16, v23, v30
	v_fma_f16 v11, v1, v11, -v14
	v_fmac_f16_e32 v17, v1, v2
	v_fmac_f16_e32 v18, v3, v0
	v_fma_f16 v0, v3, v15, -v19
	v_pack_b32_f16 v1, v10, v12
	v_pack_b32_f16 v2, v16, v13
	;; [unrolled: 1-line block ×3, first 2 shown]
	v_add_nc_u32_e32 v10, 0x600, v25
	v_pack_b32_f16 v0, v18, v0
	ds_write2_b32 v25, v4, v6 offset0:196 offset1:245
	ds_write2_b32 v33, v5, v7 offset0:38 offset1:87
	;; [unrolled: 1-line block ×4, first 2 shown]
	ds_write_b32 v25, v0 offset:2352
.LBB0_3:
	s_or_b32 exec_lo, exec_lo, s1
	s_clause 0x1
	s_load_dwordx2 s[2:3], s[4:5], 0x20
	s_load_dwordx2 s[0:1], s[4:5], 0x8
	s_waitcnt lgkmcnt(0)
	s_barrier
	buffer_gl0_inv
                                        ; implicit-def: $vgpr0
                                        ; implicit-def: $vgpr7
                                        ; implicit-def: $vgpr24
                                        ; implicit-def: $vgpr4
                                        ; implicit-def: $vgpr23
                                        ; implicit-def: $vgpr22
                                        ; implicit-def: $vgpr2
                                        ; implicit-def: $vgpr21
                                        ; implicit-def: $vgpr20
                                        ; implicit-def: $vgpr13
                                        ; implicit-def: $vgpr19
                                        ; implicit-def: $vgpr35
                                        ; implicit-def: $vgpr16
                                        ; implicit-def: $vgpr36
                                        ; implicit-def: $vgpr37
                                        ; implicit-def: $vgpr18
                                        ; implicit-def: $vgpr38
                                        ; implicit-def: $vgpr39
                                        ; implicit-def: $vgpr40
	s_and_saveexec_b32 s4, vcc_lo
	s_cbranch_execz .LBB0_5
; %bb.4:
	v_add_nc_u32_e32 v2, 0x400, v25
	v_add_nc_u32_e32 v3, 0x600, v25
	ds_read2_b32 v[0:1], v25 offset1:49
	ds_read2_b32 v[17:18], v25 offset0:98 offset1:147
	ds_read2_b32 v[15:16], v25 offset0:196 offset1:245
	ds_read2_b32 v[6:7], v2 offset0:38 offset1:87
	ds_read2_b32 v[4:5], v2 offset0:136 offset1:185
	ds_read2_b32 v[2:3], v3 offset0:106 offset1:155
	ds_read_b32 v13, v25 offset:2352
	s_waitcnt lgkmcnt(5)
	v_lshrrev_b32_e32 v39, 16, v17
	v_lshrrev_b32_e32 v40, 16, v1
	;; [unrolled: 1-line block ×3, first 2 shown]
	s_waitcnt lgkmcnt(4)
	v_lshrrev_b32_e32 v37, 16, v15
	v_lshrrev_b32_e32 v36, 16, v16
	s_waitcnt lgkmcnt(3)
	v_lshrrev_b32_e32 v35, 16, v6
	v_lshrrev_b32_e32 v24, 16, v7
	;; [unrolled: 3-line block ×4, first 2 shown]
	s_waitcnt lgkmcnt(0)
	v_lshrrev_b32_e32 v19, 16, v13
.LBB0_5:
	s_or_b32 exec_lo, exec_lo, s4
	v_sub_f16_e32 v14, v40, v19
	v_add_f16_e32 v52, v13, v1
	v_sub_f16_e32 v27, v39, v20
	v_add_f16_e32 v54, v3, v17
	v_sub_f16_e32 v28, v38, v21
	v_mul_f16_e32 v42, 0xba95, v14
	v_mul_f16_e32 v46, 0xbbf1, v14
	;; [unrolled: 1-line block ×4, first 2 shown]
	v_add_f16_e32 v57, v2, v18
	v_fmamk_f16 v9, v52, 0x388b, v42
	v_fmamk_f16 v10, v52, 0x2fb7, v46
	;; [unrolled: 1-line block ×4, first 2 shown]
	v_mul_f16_e32 v44, 0xb3a8, v28
	v_add_f16_e32 v9, v9, v0
	v_add_f16_e32 v10, v10, v0
	v_mul_f16_e32 v51, 0xbb7b, v14
	v_mul_f16_e32 v48, 0x3b7b, v28
	v_fmamk_f16 v31, v57, 0xbbc4, v44
	v_add_f16_e32 v9, v12, v9
	v_add_f16_e32 v10, v30, v10
	v_sub_f16_e32 v30, v37, v22
	v_mul_f16_e32 v59, 0xb94e, v14
	v_fmamk_f16 v11, v52, 0xb5ac, v51
	v_mul_f16_e32 v53, 0x394e, v27
	v_fmamk_f16 v32, v57, 0xb5ac, v48
	v_add_f16_e32 v61, v5, v15
	v_mul_f16_e32 v43, 0x394e, v30
	v_mul_f16_e32 v50, 0x3770, v30
	v_add_f16_e32 v9, v31, v9
	v_sub_f16_e32 v31, v36, v23
	v_fmamk_f16 v29, v52, 0xb9fd, v59
	v_add_f16_e32 v11, v11, v0
	v_fmamk_f16 v12, v54, 0xb9fd, v53
	v_add_f16_e32 v10, v32, v10
	v_fmamk_f16 v32, v61, 0xb9fd, v43
	v_fmamk_f16 v33, v61, 0x3b15, v50
	v_add_f16_e32 v63, v4, v16
	v_mul_f16_e32 v47, 0x3bf1, v31
	v_mul_f16_e32 v56, 0xba95, v31
	;; [unrolled: 1-line block ×3, first 2 shown]
	v_add_f16_e32 v9, v32, v9
	v_add_f16_e32 v10, v33, v10
	v_fmamk_f16 v33, v63, 0x2fb7, v47
	v_fmamk_f16 v34, v63, 0x388b, v56
	v_add_f16_e32 v11, v12, v11
	v_add_f16_e32 v12, v29, v0
	v_fmamk_f16 v29, v54, 0x2fb7, v80
	v_mul_f16_e32 v69, 0x3770, v28
	v_mul_f16_e32 v82, 0xba95, v28
	v_sub_f16_e32 v32, v35, v24
	v_add_f16_e32 v9, v33, v9
	v_add_f16_e32 v33, v34, v10
	;; [unrolled: 1-line block ×3, first 2 shown]
	v_fmamk_f16 v12, v57, 0x3b15, v69
	v_fmamk_f16 v29, v57, 0x388b, v82
	v_mul_f16_e32 v70, 0xbbf1, v30
	v_mul_f16_e32 v77, 0x33a8, v30
	v_add_f16_e32 v65, v7, v6
	v_mul_f16_e32 v55, 0x3770, v32
	v_add_f16_e32 v11, v12, v11
	v_add_f16_e32 v10, v29, v10
	v_fmamk_f16 v12, v61, 0x2fb7, v70
	v_mul_f16_e32 v68, 0x33a8, v31
	v_fmamk_f16 v29, v61, 0xbbc4, v77
	v_mul_f16_e32 v78, 0x3770, v31
	v_fmamk_f16 v34, v65, 0x3b15, v55
	v_add_f16_e32 v11, v12, v11
	v_fmamk_f16 v12, v63, 0xbbc4, v68
	v_add_f16_e32 v29, v29, v10
	v_fmamk_f16 v60, v63, 0x3b15, v78
	v_mul_f16_e32 v71, 0x3a95, v32
	v_mul_f16_e32 v58, 0xb770, v14
	v_mul_f16_e32 v81, 0xbb7b, v32
	v_mul_f16_e32 v49, 0xb94e, v32
	v_add_f16_e32 v10, v34, v9
	v_add_f16_e32 v11, v12, v11
	;; [unrolled: 1-line block ×3, first 2 shown]
	v_fmamk_f16 v12, v65, 0x388b, v71
	v_sub_f16_e32 v34, v1, v13
	v_fmamk_f16 v9, v52, 0x3b15, v58
	v_mul_f16_e32 v60, 0xba95, v27
	v_fmamk_f16 v66, v65, 0xb5ac, v81
	v_fmamk_f16 v64, v65, 0xb9fd, v49
	v_add_f16_e32 v96, v19, v40
	v_mul_f16_e32 v62, 0xb770, v34
	v_add_f16_e32 v67, v9, v0
	v_fmamk_f16 v72, v54, 0x388b, v60
	v_add_f16_e32 v12, v12, v11
	v_add_f16_e32 v11, v66, v29
	v_sub_f16_e32 v66, v17, v3
	v_mul_f16_e32 v74, 0xba95, v34
	v_add_f16_e32 v9, v64, v33
	v_fma_f16 v33, v96, 0x3b15, -v62
	v_add_f16_e32 v29, v72, v67
	v_mul_f16_e32 v83, 0xbbf1, v34
	v_add_f16_e32 v95, v20, v39
	v_mul_f16_e32 v64, 0xba95, v66
	v_fma_f16 v67, v96, 0x388b, -v74
	v_mul_f16_e32 v72, 0xbb7b, v66
	v_add_f16_sdwa v33, v33, v0 dst_sel:DWORD dst_unused:UNUSED_PAD src0_sel:DWORD src1_sel:WORD_1
	v_fma_f16 v73, v96, 0x2fb7, -v83
	v_mul_f16_e32 v85, 0xb3a8, v66
	v_fma_f16 v75, v95, 0x388b, -v64
	v_add_f16_sdwa v67, v67, v0 dst_sel:DWORD dst_unused:UNUSED_PAD src0_sel:DWORD src1_sel:WORD_1
	v_fma_f16 v76, v95, 0xb5ac, -v72
	v_mul_f16_e32 v102, 0xb94e, v34
	v_add_f16_sdwa v73, v73, v0 dst_sel:DWORD dst_unused:UNUSED_PAD src0_sel:DWORD src1_sel:WORD_1
	v_fma_f16 v79, v95, 0xbbc4, -v85
	v_mul_f16_e32 v92, 0xbb7b, v34
	v_add_f16_e32 v33, v75, v33
	v_add_f16_e32 v75, v76, v67
	v_fma_f16 v76, v96, 0xb9fd, -v102
	v_mul_f16_e32 v103, 0x3bf1, v66
	v_add_f16_e32 v73, v79, v73
	v_fma_f16 v67, v96, 0xb5ac, -v92
	v_mul_f16_e32 v93, 0x394e, v66
	v_mul_f16_e32 v107, 0xb3a8, v14
	v_add_f16_sdwa v76, v76, v0 dst_sel:DWORD dst_unused:UNUSED_PAD src0_sel:DWORD src1_sel:WORD_1
	v_fma_f16 v79, v95, 0x2fb7, -v103
	v_add_f16_sdwa v14, v67, v0 dst_sel:DWORD dst_unused:UNUSED_PAD src0_sel:DWORD src1_sel:WORD_1
	v_fma_f16 v67, v95, 0xb9fd, -v93
	v_fmamk_f16 v84, v52, 0xbbc4, v107
	v_mul_f16_e32 v108, 0x3770, v27
	v_mul_f16_e32 v112, 0xb3a8, v34
	v_add_f16_e32 v27, v79, v76
	v_sub_f16_e32 v79, v18, v2
	v_add_f16_e32 v14, v67, v14
	v_add_f16_e32 v34, v84, v0
	v_fmamk_f16 v76, v54, 0x3b15, v108
	v_fma_f16 v84, v96, 0xbbc4, -v112
	v_add_f16_e32 v97, v21, v38
	v_mul_f16_e32 v67, 0xbbf1, v79
	v_mul_f16_e32 v114, 0x3770, v66
	v_add_f16_e32 v34, v76, v34
	v_add_f16_sdwa v86, v84, v0 dst_sel:DWORD dst_unused:UNUSED_PAD src0_sel:DWORD src1_sel:WORD_1
	v_mul_f16_e32 v84, 0xb3a8, v79
	v_fma_f16 v76, v97, 0x2fb7, -v67
	v_fma_f16 v87, v95, 0x3b15, -v114
	v_mul_f16_e32 v90, 0x3b7b, v79
	v_mul_f16_e32 v110, 0xba95, v79
	;; [unrolled: 1-line block ×3, first 2 shown]
	v_add_f16_e32 v33, v76, v33
	v_fma_f16 v76, v97, 0xbbc4, -v84
	v_add_f16_e32 v86, v87, v86
	v_mul_f16_e32 v99, 0x3770, v79
	v_fma_f16 v87, v97, 0xb5ac, -v90
	v_mul_f16_e32 v113, 0xb94e, v28
	v_add_f16_e32 v28, v76, v75
	v_fma_f16 v76, v97, 0x388b, -v110
	v_fma_f16 v75, v97, 0x3b15, -v99
	v_add_f16_e32 v87, v87, v73
	v_fmamk_f16 v73, v57, 0xb9fd, v113
	v_mul_f16_e32 v117, 0xb94e, v79
	v_add_f16_e32 v27, v76, v27
	v_sub_f16_e32 v76, v15, v5
	v_fmamk_f16 v88, v57, 0x2fb7, v66
	v_add_f16_e32 v14, v75, v14
	v_add_f16_e32 v34, v73, v34
	v_fma_f16 v79, v97, 0xb9fd, -v117
	v_mul_f16_e32 v73, 0xbb7b, v30
	v_add_f16_e32 v101, v22, v37
	v_mul_f16_e32 v75, 0xbb7b, v76
	v_mul_f16_e32 v94, 0x3770, v76
	;; [unrolled: 1-line block ×3, first 2 shown]
	v_add_f16_e32 v29, v88, v29
	v_mul_f16_e32 v89, 0x394e, v76
	v_fmamk_f16 v88, v61, 0xb5ac, v73
	v_add_f16_e32 v79, v79, v86
	v_fma_f16 v86, v101, 0xb5ac, -v75
	v_fma_f16 v98, v101, 0x3b15, -v94
	v_mul_f16_e32 v104, 0xbbf1, v76
	v_mul_f16_e32 v116, 0x3a95, v30
	;; [unrolled: 1-line block ×3, first 2 shown]
	v_fma_f16 v30, v101, 0xbbc4, -v115
	v_fma_f16 v91, v101, 0xb9fd, -v89
	v_add_f16_e32 v29, v88, v29
	v_add_f16_e32 v33, v86, v33
	;; [unrolled: 1-line block ×3, first 2 shown]
	v_fma_f16 v87, v101, 0x2fb7, -v104
	v_mul_f16_e32 v76, 0xb94e, v31
	v_fma_f16 v88, v101, 0x388b, -v120
	v_add_f16_e32 v27, v30, v27
	v_sub_f16_e32 v30, v16, v4
	v_add_f16_e32 v28, v91, v28
	v_add_f16_e32 v14, v87, v14
	v_fmamk_f16 v87, v61, 0x388b, v116
	v_fmamk_f16 v91, v63, 0xb9fd, v76
	v_add_f16_e32 v100, v88, v79
	v_add_f16_e32 v105, v23, v36
	v_mul_f16_e32 v79, 0xb94e, v30
	v_mul_f16_e32 v88, 0x3bf1, v30
	;; [unrolled: 1-line block ×3, first 2 shown]
	v_add_f16_e32 v34, v87, v34
	v_add_f16_e32 v29, v91, v29
	v_mul_f16_e32 v109, 0x33a8, v30
	v_mul_f16_e32 v118, 0x3770, v30
	v_fma_f16 v87, v105, 0xb9fd, -v79
	v_fma_f16 v91, v105, 0x2fb7, -v88
	;; [unrolled: 1-line block ×3, first 2 shown]
	v_sub_f16_e32 v124, v6, v7
	v_fma_f16 v111, v105, 0xbbc4, -v109
	v_fma_f16 v119, v105, 0x3b15, -v118
	v_add_f16_e32 v33, v87, v33
	v_add_f16_e32 v122, v91, v28
	;; [unrolled: 1-line block ×3, first 2 shown]
	v_mul_f16_e32 v121, 0xbb7b, v31
	v_mul_f16_e32 v123, 0xbb7b, v30
	;; [unrolled: 1-line block ×3, first 2 shown]
	v_add_f16_e32 v106, v24, v35
	v_mul_f16_e32 v87, 0xb3a8, v124
	v_mul_f16_e32 v91, 0x3770, v124
	v_add_f16_e32 v14, v111, v14
	v_add_f16_e32 v27, v119, v27
	v_fmamk_f16 v28, v63, 0xb5ac, v121
	v_fma_f16 v30, v105, 0xb5ac, -v123
	v_fmamk_f16 v31, v65, 0xbbc4, v86
	v_fma_f16 v111, v106, 0xbbc4, -v87
	v_fma_f16 v119, v106, 0x3b15, -v91
	v_add_f16_e32 v126, v28, v34
	v_add_f16_e32 v34, v30, v100
	;; [unrolled: 1-line block ×5, first 2 shown]
	v_mul_f16_e32 v100, 0xb94e, v124
	v_mul_f16_e32 v111, 0x3a95, v124
	;; [unrolled: 1-line block ×5, first 2 shown]
	v_fma_f16 v31, v106, 0xb9fd, -v100
	v_fma_f16 v32, v106, 0x388b, -v111
	;; [unrolled: 1-line block ×4, first 2 shown]
	v_fmamk_f16 v128, v65, 0x2fb7, v122
	v_add_f16_e32 v31, v31, v125
	v_add_f16_e32 v32, v32, v14
	;; [unrolled: 1-line block ×5, first 2 shown]
	v_mul_lo_u16 v27, v26, 13
	s_barrier
	buffer_gl0_inv
	s_and_saveexec_b32 s4, vcc_lo
	s_cbranch_execz .LBB0_7
; %bb.6:
	v_mul_f16_e32 v125, 0xbbc4, v96
	v_mul_f16_e32 v126, 0x3b15, v95
	;; [unrolled: 1-line block ×5, first 2 shown]
	v_add_f16_e32 v112, v112, v125
	v_add_f16_e32 v114, v114, v126
	;; [unrolled: 1-line block ×3, first 2 shown]
	v_mul_f16_e32 v129, 0xb5ac, v105
	v_mul_f16_e32 v131, 0x3b15, v54
	v_add_f16_sdwa v112, v112, v0 dst_sel:DWORD dst_unused:UNUSED_PAD src0_sel:DWORD src1_sel:WORD_1
	v_add_f16_e32 v120, v120, v128
	v_sub_f16_e32 v107, v130, v107
	v_mul_f16_e32 v127, 0xb9fd, v96
	v_add_f16_e32 v123, v123, v129
	v_add_f16_e32 v112, v114, v112
	v_sub_f16_e32 v108, v131, v108
	v_add_f16_e32 v107, v107, v0
	v_mul_f16_e32 v132, 0xb9fd, v57
	v_add_f16_e32 v102, v102, v127
	v_add_f16_e32 v112, v117, v112
	v_mul_f16_e32 v126, 0x3b15, v52
	v_add_f16_e32 v107, v108, v107
	v_sub_f16_e32 v113, v132, v113
	v_add_f16_sdwa v102, v102, v0 dst_sel:DWORD dst_unused:UNUSED_PAD src0_sel:DWORD src1_sel:WORD_1
	v_add_f16_e32 v112, v120, v112
	v_mul_f16_e32 v114, 0x388b, v52
	v_mul_f16_e32 v120, 0x2fb7, v52
	v_add_f16_e32 v107, v113, v107
	v_mul_f16_e32 v133, 0x3b15, v96
	v_add_f16_e32 v108, v123, v112
	v_mul_f16_e32 v112, 0x2fb7, v95
	v_mul_f16_e32 v123, 0x388b, v61
	;; [unrolled: 1-line block ×5, first 2 shown]
	v_add_f16_e32 v103, v103, v112
	v_sub_f16_e32 v116, v123, v116
	v_mul_f16_e32 v123, 0x388b, v97
	v_mul_f16_e32 v112, 0xb5ac, v52
	;; [unrolled: 1-line block ×3, first 2 shown]
	v_add_f16_e32 v102, v103, v102
	v_mul_f16_e32 v103, 0xb5ac, v63
	v_add_f16_e32 v110, v110, v123
	v_add_f16_e32 v107, v116, v107
	v_mul_f16_e32 v116, 0xbbc4, v101
	v_sub_f16_e32 v52, v52, v59
	v_sub_f16_e32 v103, v103, v121
	v_add_f16_e32 v102, v110, v102
	v_mul_f16_e32 v110, 0x2fb7, v65
	v_add_f16_e32 v115, v115, v116
	v_add_f16_e32 v52, v52, v0
	;; [unrolled: 1-line block ×3, first 2 shown]
	v_mul_f16_e32 v107, 0x3b15, v105
	v_sub_f16_e32 v110, v110, v122
	v_add_f16_e32 v102, v115, v102
	v_mul_f16_e32 v121, 0x388b, v95
	v_mul_f16_e32 v122, 0xb5ac, v95
	v_add_f16_e32 v107, v118, v107
	v_mul_f16_e32 v118, 0x2fb7, v54
	v_add_f16_e32 v103, v110, v103
	v_mul_f16_e32 v110, 0x388b, v57
	v_mul_f16_e32 v59, 0xbbc4, v95
	;; [unrolled: 1-line block ×3, first 2 shown]
	v_sub_f16_e32 v80, v118, v80
	v_add_f16_e32 v102, v107, v102
	v_sub_f16_e32 v82, v110, v82
	v_mul_f16_e32 v107, 0xb5ac, v106
	v_add_f16_e32 v92, v92, v96
	v_add_f16_e32 v52, v80, v52
	v_mul_f16_e32 v80, 0x2fb7, v97
	v_add_f16_e32 v93, v93, v95
	v_add_f16_e32 v107, v119, v107
	v_mul_f16_e32 v119, 0xbbc4, v97
	v_add_f16_e32 v52, v82, v52
	v_mul_f16_e32 v82, 0xbbc4, v61
	v_mul_f16_e32 v95, 0xb5ac, v97
	v_add_f16_sdwa v92, v92, v0 dst_sel:DWORD dst_unused:UNUSED_PAD src0_sel:DWORD src1_sel:WORD_1
	v_mul_f16_e32 v97, 0x3b15, v97
	v_mul_f16_e32 v123, 0x388b, v54
	v_sub_f16_e32 v77, v82, v77
	v_mul_f16_e32 v116, 0xb5ac, v54
	v_mul_f16_e32 v115, 0xbbc4, v54
	;; [unrolled: 1-line block ×3, first 2 shown]
	v_add_f16_e32 v92, v93, v92
	v_mul_f16_e32 v93, 0x3b15, v63
	v_add_f16_e32 v97, v99, v97
	v_add_f16_e32 v52, v77, v52
	v_mul_f16_e32 v77, 0x2fb7, v101
	v_sub_f16_e32 v51, v112, v51
	v_mul_f16_e32 v118, 0x2fb7, v57
	v_mul_f16_e32 v110, 0xbbc4, v57
	;; [unrolled: 1-line block ×4, first 2 shown]
	v_sub_f16_e32 v78, v93, v78
	v_add_f16_e32 v92, v97, v92
	v_add_f16_e32 v77, v104, v77
	;; [unrolled: 1-line block ×3, first 2 shown]
	v_mul_f16_e32 v107, 0xbbc4, v105
	v_sub_f16_e32 v53, v54, v53
	v_add_f16_e32 v51, v51, v0
	v_mul_f16_e32 v82, 0xb5ac, v61
	v_mul_f16_e32 v93, 0xb9fd, v61
	;; [unrolled: 1-line block ×4, first 2 shown]
	v_add_f16_e32 v52, v78, v52
	v_mul_f16_e32 v78, 0xb5ac, v65
	v_add_f16_e32 v77, v77, v92
	v_add_f16_e32 v107, v109, v107
	;; [unrolled: 1-line block ×3, first 2 shown]
	v_sub_f16_e32 v57, v57, v69
	v_mul_f16_e32 v92, 0xb9fd, v63
	v_sub_f16_e32 v78, v78, v81
	v_mul_f16_e32 v81, 0x2fb7, v63
	v_add_f16_e32 v77, v107, v77
	v_mul_f16_e32 v107, 0x388b, v106
	v_mul_f16_e32 v54, 0x388b, v63
	;; [unrolled: 1-line block ×3, first 2 shown]
	v_add_f16_e32 v51, v57, v51
	v_sub_f16_e32 v57, v61, v70
	v_add_f16_e32 v107, v111, v107
	v_mul_f16_e32 v111, 0xbbc4, v65
	v_add_f16_e32 v83, v83, v113
	v_mul_f16_e32 v113, 0x3b15, v65
	;; [unrolled: 2-line block ×3, first 2 shown]
	v_mul_f16_e32 v65, 0x388b, v65
	v_sub_f16_e32 v46, v120, v46
	v_add_f16_e32 v51, v57, v51
	v_sub_f16_e32 v57, v63, v68
	v_sub_f16_e32 v45, v115, v45
	;; [unrolled: 1-line block ×3, first 2 shown]
	v_add_f16_e32 v46, v46, v0
	v_mul_f16_e32 v97, 0xb9fd, v101
	v_add_f16_e32 v51, v57, v51
	v_sub_f16_e32 v57, v65, v71
	v_add_f16_e32 v42, v42, v0
	v_add_f16_e32 v45, v45, v46
	v_sub_f16_e32 v46, v96, v48
	v_sub_f16_e32 v41, v116, v41
	v_add_f16_e32 v48, v57, v51
	v_add_f16_e32 v51, v74, v117
	v_add_f16_sdwa v40, v40, v0 dst_sel:DWORD dst_unused:UNUSED_PAD src0_sel:DWORD src1_sel:WORD_1
	v_add_f16_e32 v45, v46, v45
	v_sub_f16_e32 v46, v104, v50
	v_add_f16_e32 v1, v1, v0
	v_add_f16_sdwa v50, v51, v0 dst_sel:DWORD dst_unused:UNUSED_PAD src0_sel:DWORD src1_sel:WORD_1
	v_add_f16_e32 v51, v72, v122
	v_mul_f16_e32 v112, 0x2fb7, v105
	v_add_f16_e32 v45, v46, v45
	v_sub_f16_e32 v46, v54, v56
	v_add_f16_e32 v41, v41, v42
	v_add_f16_e32 v50, v51, v50
	;; [unrolled: 1-line block ×3, first 2 shown]
	v_sub_f16_e32 v42, v110, v44
	v_add_f16_e32 v45, v46, v45
	v_add_f16_e32 v39, v39, v40
	v_add_f16_e32 v1, v17, v1
	v_add_f16_e32 v46, v51, v50
	v_add_f16_e32 v50, v89, v97
	v_mul_f16_e32 v69, 0x3b15, v106
	v_add_f16_e32 v41, v42, v41
	v_sub_f16_e32 v42, v93, v43
	v_add_f16_e32 v38, v38, v39
	v_add_f16_e32 v43, v50, v46
	;; [unrolled: 1-line block ×9, first 2 shown]
	v_add_f16_sdwa v83, v83, v0 dst_sel:DWORD dst_unused:UNUSED_PAD src0_sel:DWORD src1_sel:WORD_1
	v_mul_f16_e32 v99, 0xb5ac, v101
	v_add_f16_e32 v36, v36, v37
	v_add_f16_e32 v15, v18, v41
	;; [unrolled: 1-line block ×4, first 2 shown]
	v_sub_f16_e32 v16, v126, v58
	v_add_f16_e32 v37, v64, v121
	v_add_f16_e32 v35, v35, v36
	v_add_f16_sdwa v18, v18, v0 dst_sel:DWORD dst_unused:UNUSED_PAD src0_sel:DWORD src1_sel:WORD_1
	v_add_f16_e32 v1, v6, v1
	v_add_f16_e32 v0, v16, v0
	v_sub_f16_e32 v6, v123, v60
	v_mul_f16_e32 v101, 0x3b15, v101
	v_add_f16_e32 v16, v37, v18
	v_add_f16_e32 v18, v24, v35
	;; [unrolled: 1-line block ×5, first 2 shown]
	v_sub_f16_e32 v6, v118, v66
	v_add_f16_e32 v18, v23, v18
	v_add_f16_e32 v1, v4, v1
	v_mul_f16_e32 v109, 0xb9fd, v105
	v_add_f16_e32 v59, v59, v83
	v_add_f16_e32 v61, v90, v95
	;; [unrolled: 1-line block ×7, first 2 shown]
	v_sub_f16_e32 v5, v82, v73
	v_mul_f16_e32 v105, 0x388b, v105
	v_mul_f16_e32 v53, 0xbbc4, v106
	v_add_f16_e32 v59, v61, v59
	v_add_f16_e32 v61, v94, v101
	;; [unrolled: 1-line block ×7, first 2 shown]
	v_sub_f16_e32 v2, v92, v76
	v_sub_f16_e32 v40, v81, v47
	v_mul_f16_e32 v125, 0x2fb7, v106
	v_mul_f16_e32 v106, 0xb9fd, v106
	v_add_f16_e32 v59, v61, v59
	v_add_f16_e32 v61, v98, v105
	v_add_f16_e32 v4, v7, v4
	v_add_f16_e32 v5, v20, v6
	v_add_f16_e32 v1, v3, v1
	v_add_f16_e32 v3, v87, v53
	v_add_f16_e32 v0, v2, v0
	v_sub_f16_e32 v2, v111, v86
	v_add_f16_e32 v17, v40, v17
	v_sub_f16_e32 v39, v113, v55
	v_add_f16_e32 v57, v61, v59
	v_add_f16_e32 v44, v100, v106
	v_add_f16_sdwa v5, v19, v5 dst_sel:WORD_1 dst_unused:UNUSED_PAD src0_sel:DWORD src1_sel:DWORD
	v_add_f16_e32 v1, v13, v1
	v_mov_b32_e32 v6, 2
	v_add_f16_e32 v3, v3, v4
	v_add_f16_e32 v0, v2, v0
	v_sub_f16_e32 v2, v85, v49
	v_add_f16_e32 v124, v124, v125
	v_add_f16_e32 v17, v39, v17
	;; [unrolled: 1-line block ×3, first 2 shown]
	v_or_b32_sdwa v1, v5, v1 dst_sel:DWORD dst_unused:UNUSED_PAD src0_sel:DWORD src1_sel:WORD_0
	v_lshlrev_b32_sdwa v4, v6, v27 dst_sel:DWORD dst_unused:UNUSED_PAD src0_sel:DWORD src1_sel:WORD_0
	v_pack_b32_f16 v0, v0, v3
	v_add_f16_e32 v3, v44, v57
	v_add_f16_e32 v2, v2, v45
	;; [unrolled: 1-line block ×3, first 2 shown]
	v_pack_b32_f16 v5, v17, v15
	v_add_f16_e32 v6, v78, v52
	ds_write_b32 v4, v1
	ds_write2_b32 v4, v0, v5 offset0:1 offset1:2
	v_pack_b32_f16 v0, v48, v70
	v_pack_b32_f16 v1, v2, v3
	;; [unrolled: 1-line block ×4, first 2 shown]
	v_perm_b32 v5, v33, v11, 0x5040100
	v_perm_b32 v6, v34, v14, 0x5040100
	;; [unrolled: 1-line block ×6, first 2 shown]
	ds_write2_b32 v4, v1, v0 offset0:3 offset1:4
	ds_write2_b32 v4, v3, v2 offset0:5 offset1:6
	;; [unrolled: 1-line block ×5, first 2 shown]
.LBB0_7:
	s_or_b32 exec_lo, exec_lo, s4
	v_and_b32_e32 v0, 0xff, v26
	s_load_dwordx4 s[4:7], s[2:3], 0x0
	s_waitcnt lgkmcnt(0)
	s_barrier
	buffer_gl0_inv
	v_mul_lo_u16 v0, 0x4f, v0
	v_add_nc_u32_e32 v43, 0x200, v25
	v_add_nc_u32_e32 v42, 0x400, v25
	v_mov_b32_e32 v23, 0x5b
	v_mad_u64_u32 v[19:20], null, v26, 24, s[0:1]
	v_lshrrev_b16 v13, 10, v0
	v_mul_lo_u16 v0, v13, 13
	v_mul_u32_u24_sdwa v13, v13, v23 dst_sel:DWORD dst_unused:UNUSED_PAD src0_sel:WORD_0 src1_sel:DWORD
	v_sub_nc_u16 v0, v26, v0
	v_and_b32_e32 v21, 0xff, v0
	v_mul_u32_u24_e32 v0, 6, v21
	v_add_lshl_u32 v35, v13, v21, 2
	v_lshlrev_b32_e32 v4, 2, v0
	s_clause 0x1
	global_load_dwordx4 v[0:3], v4, s[0:1]
	global_load_dwordx2 v[15:16], v4, s[0:1] offset:16
	ds_read2_b32 v[4:5], v25 offset1:91
	ds_read_b32 v22, v25 offset:2184
	ds_read2_b32 v[6:7], v43 offset0:54 offset1:145
	ds_read2_b32 v[17:18], v42 offset0:108 offset1:199
	s_waitcnt vmcnt(0) lgkmcnt(0)
	s_barrier
	buffer_gl0_inv
	v_lshrrev_b32_e32 v23, 16, v5
	v_lshrrev_b32_e32 v24, 16, v22
	;; [unrolled: 1-line block ×6, first 2 shown]
	v_mul_f16_sdwa v13, v23, v0 dst_sel:DWORD dst_unused:UNUSED_PAD src0_sel:DWORD src1_sel:WORD_1
	v_mul_f16_sdwa v21, v5, v0 dst_sel:DWORD dst_unused:UNUSED_PAD src0_sel:DWORD src1_sel:WORD_1
	;; [unrolled: 1-line block ×12, first 2 shown]
	v_fma_f16 v5, v5, v0, -v13
	v_fmac_f16_e32 v21, v23, v0
	v_fma_f16 v6, v6, v1, -v40
	v_fmac_f16_e32 v41, v36, v1
	v_fma_f16 v13, v17, v3, -v46
	v_fma_f16 v17, v22, v16, -v50
	v_fmac_f16_e32 v51, v24, v16
	v_fma_f16 v18, v18, v15, -v48
	v_fmac_f16_e32 v49, v39, v15
	v_fma_f16 v7, v7, v2, -v44
	v_fmac_f16_e32 v45, v37, v2
	v_fmac_f16_e32 v47, v38, v3
	v_add_f16_e32 v22, v5, v17
	v_add_f16_e32 v23, v21, v51
	v_sub_f16_e32 v5, v5, v17
	v_sub_f16_e32 v17, v21, v51
	v_add_f16_e32 v21, v6, v18
	v_add_f16_e32 v24, v41, v49
	v_sub_f16_e32 v6, v6, v18
	v_add_f16_e32 v36, v7, v13
	v_add_f16_e32 v37, v45, v47
	;; [unrolled: 3-line block ×3, first 2 shown]
	v_sub_f16_e32 v18, v41, v49
	v_sub_f16_e32 v13, v47, v45
	;; [unrolled: 1-line block ×8, first 2 shown]
	v_add_f16_e32 v44, v7, v6
	v_sub_f16_e32 v46, v7, v6
	v_sub_f16_e32 v6, v6, v5
	v_add_f16_e32 v36, v36, v38
	v_add_f16_e32 v37, v37, v39
	;; [unrolled: 1-line block ×3, first 2 shown]
	v_sub_f16_e32 v47, v13, v18
	v_sub_f16_e32 v7, v5, v7
	;; [unrolled: 1-line block ×3, first 2 shown]
	v_add_f16_e32 v5, v44, v5
	v_mul_f16_e32 v22, 0x3a52, v22
	v_mul_f16_e32 v38, 0x2b26, v21
	;; [unrolled: 1-line block ×4, first 2 shown]
	v_add_f16_e32 v48, v36, v4
	v_add_f16_sdwa v4, v37, v4 dst_sel:DWORD dst_unused:UNUSED_PAD src0_sel:DWORD src1_sel:WORD_1
	v_sub_f16_e32 v13, v17, v13
	v_add_f16_e32 v17, v45, v17
	v_mul_f16_e32 v23, 0x3a52, v23
	v_mul_f16_e32 v39, 0x2b26, v24
	;; [unrolled: 1-line block ×4, first 2 shown]
	v_fmamk_f16 v21, v21, 0x2b26, v22
	v_fma_f16 v38, v40, 0x39e0, -v38
	v_fma_f16 v22, v40, 0xb9e0, -v22
	v_fmamk_f16 v40, v7, 0x3574, v44
	v_fma_f16 v6, v6, 0x3b00, -v44
	v_fma_f16 v7, v7, 0xb574, -v46
	v_lshlrev_b32_e32 v44, 16, v4
	v_fmamk_f16 v24, v24, 0x2b26, v23
	v_fma_f16 v39, v41, 0x39e0, -v39
	v_fma_f16 v23, v41, 0xb9e0, -v23
	v_fmamk_f16 v41, v13, 0x3574, v45
	v_fma_f16 v18, v18, 0x3b00, -v45
	v_fma_f16 v13, v13, 0xb574, -v47
	v_fmac_f16_e32 v4, 0xbcab, v37
	v_fmac_f16_e32 v40, 0x370e, v5
	;; [unrolled: 1-line block ×4, first 2 shown]
	v_or_b32_sdwa v5, v44, v48 dst_sel:DWORD dst_unused:UNUSED_PAD src0_sel:DWORD src1_sel:WORD_0
	v_fmac_f16_e32 v48, 0xbcab, v36
	v_fmac_f16_e32 v41, 0x370e, v17
	;; [unrolled: 1-line block ×4, first 2 shown]
	v_add_f16_e32 v17, v24, v4
	v_add_f16_e32 v24, v39, v4
	;; [unrolled: 1-line block ×6, first 2 shown]
	v_sub_f16_e32 v36, v17, v40
	v_sub_f16_e32 v37, v4, v7
	v_add_f16_e32 v4, v7, v4
	v_add_f16_e32 v7, v40, v17
	;; [unrolled: 1-line block ×4, first 2 shown]
	v_sub_f16_e32 v6, v24, v6
	v_add_f16_e32 v24, v13, v22
	v_sub_f16_e32 v39, v23, v18
	v_add_f16_e32 v18, v18, v23
	v_sub_f16_e32 v13, v22, v13
	v_sub_f16_e32 v21, v21, v41
	v_pack_b32_f16 v17, v17, v36
	v_pack_b32_f16 v22, v24, v37
	;; [unrolled: 1-line block ×6, first 2 shown]
	ds_write2_b32 v35, v5, v17 offset1:13
	ds_write2_b32 v35, v22, v23 offset0:26 offset1:39
	ds_write2_b32 v35, v6, v4 offset0:52 offset1:65
	ds_write_b32 v35, v7 offset:312
	s_waitcnt lgkmcnt(0)
	s_barrier
	buffer_gl0_inv
	s_clause 0x1
	global_load_dwordx4 v[4:7], v[19:20], off offset:312
	global_load_dwordx2 v[17:18], v[19:20], off offset:328
	ds_read2_b32 v[19:20], v25 offset1:91
	ds_read2_b32 v[21:22], v43 offset0:54 offset1:145
	ds_read2_b32 v[23:24], v42 offset0:108 offset1:199
	ds_read_b32 v13, v25 offset:2184
	s_waitcnt lgkmcnt(3)
	v_lshrrev_b32_e32 v36, 16, v20
	s_waitcnt lgkmcnt(2)
	v_lshrrev_b32_e32 v37, 16, v21
	;; [unrolled: 2-line block ×4, first 2 shown]
	v_lshrrev_b32_e32 v38, 16, v22
	v_lshrrev_b32_e32 v39, 16, v23
	s_waitcnt vmcnt(1)
	v_mul_f16_sdwa v45, v20, v4 dst_sel:DWORD dst_unused:UNUSED_PAD src0_sel:DWORD src1_sel:WORD_1
	v_mul_f16_sdwa v47, v21, v5 dst_sel:DWORD dst_unused:UNUSED_PAD src0_sel:DWORD src1_sel:WORD_1
	s_waitcnt vmcnt(0)
	v_mul_f16_sdwa v53, v24, v17 dst_sel:DWORD dst_unused:UNUSED_PAD src0_sel:DWORD src1_sel:WORD_1
	v_mul_f16_sdwa v55, v13, v18 dst_sel:DWORD dst_unused:UNUSED_PAD src0_sel:DWORD src1_sel:WORD_1
	;; [unrolled: 1-line block ×8, first 2 shown]
	v_fmac_f16_e32 v45, v36, v4
	v_fmac_f16_e32 v47, v37, v5
	;; [unrolled: 1-line block ×4, first 2 shown]
	v_mul_f16_sdwa v48, v38, v6 dst_sel:DWORD dst_unused:UNUSED_PAD src0_sel:DWORD src1_sel:WORD_1
	v_mul_f16_sdwa v50, v39, v7 dst_sel:DWORD dst_unused:UNUSED_PAD src0_sel:DWORD src1_sel:WORD_1
	v_fma_f16 v20, v20, v4, -v44
	v_fma_f16 v21, v21, v5, -v46
	v_fmac_f16_e32 v49, v38, v6
	v_fma_f16 v13, v13, v18, -v54
	v_fmac_f16_e32 v51, v39, v7
	v_fma_f16 v24, v24, v17, -v52
	v_add_f16_e32 v37, v45, v55
	v_add_f16_e32 v39, v47, v53
	v_fma_f16 v22, v22, v6, -v48
	v_fma_f16 v23, v23, v7, -v50
	v_add_f16_e32 v36, v20, v13
	v_sub_f16_e32 v13, v20, v13
	v_sub_f16_e32 v20, v45, v55
	v_add_f16_e32 v38, v21, v24
	v_add_f16_e32 v41, v49, v51
	;; [unrolled: 1-line block ×3, first 2 shown]
	v_sub_f16_e32 v21, v21, v24
	v_sub_f16_e32 v24, v47, v53
	v_add_f16_e32 v40, v22, v23
	v_sub_f16_e32 v22, v23, v22
	v_sub_f16_e32 v23, v51, v49
	v_add_f16_e32 v44, v38, v36
	v_sub_f16_e32 v47, v39, v37
	v_sub_f16_e32 v37, v37, v41
	;; [unrolled: 1-line block ×3, first 2 shown]
	v_add_f16_e32 v41, v41, v45
	v_sub_f16_e32 v46, v38, v36
	v_sub_f16_e32 v36, v36, v40
	;; [unrolled: 1-line block ×3, first 2 shown]
	v_add_f16_e32 v48, v22, v21
	v_add_f16_e32 v49, v23, v24
	v_sub_f16_e32 v50, v22, v21
	v_sub_f16_e32 v51, v23, v24
	;; [unrolled: 1-line block ×4, first 2 shown]
	v_add_f16_e32 v40, v40, v44
	v_add_f16_sdwa v53, v41, v19 dst_sel:DWORD dst_unused:UNUSED_PAD src0_sel:DWORD src1_sel:WORD_1
	v_sub_f16_e32 v22, v13, v22
	v_sub_f16_e32 v23, v20, v23
	v_add_f16_e32 v13, v48, v13
	v_add_f16_e32 v20, v49, v20
	v_mul_f16_e32 v36, 0x3a52, v36
	v_mul_f16_e32 v37, 0x3a52, v37
	;; [unrolled: 1-line block ×8, first 2 shown]
	v_add_f16_e32 v52, v40, v19
	v_lshlrev_b32_e32 v19, 16, v53
	v_fmamk_f16 v38, v38, 0x2b26, v36
	v_fmamk_f16 v39, v39, 0x2b26, v37
	v_fma_f16 v44, v46, 0x39e0, -v44
	v_fma_f16 v45, v47, 0x39e0, -v45
	;; [unrolled: 1-line block ×4, first 2 shown]
	v_fmamk_f16 v46, v22, 0x3574, v48
	v_fmamk_f16 v47, v23, 0x3574, v49
	v_fma_f16 v21, v21, 0x3b00, -v48
	v_fma_f16 v48, v24, 0x3b00, -v49
	;; [unrolled: 1-line block ×4, first 2 shown]
	v_fmac_f16_e32 v53, 0xbcab, v41
	v_or_b32_sdwa v19, v19, v52 dst_sel:DWORD dst_unused:UNUSED_PAD src0_sel:DWORD src1_sel:WORD_0
	v_fmac_f16_e32 v52, 0xbcab, v40
	v_fmac_f16_e32 v46, 0x370e, v13
	;; [unrolled: 1-line block ×7, first 2 shown]
	v_add_f16_e32 v13, v39, v53
	v_add_f16_e32 v20, v45, v53
	;; [unrolled: 1-line block ×6, first 2 shown]
	v_sub_f16_e32 v41, v13, v46
	v_add_f16_e32 v39, v21, v20
	v_sub_f16_e32 v38, v20, v21
	v_add_f16_e32 v20, v47, v45
	;; [unrolled: 2-line block ×3, first 2 shown]
	v_add_f16_e32 v23, v49, v50
	v_sub_f16_e32 v24, v44, v48
	v_add_f16_e32 v21, v48, v44
	v_sub_f16_e32 v22, v50, v49
	;; [unrolled: 2-line block ×3, first 2 shown]
	v_pack_b32_f16 v44, v20, v41
	v_pack_b32_f16 v45, v23, v40
	;; [unrolled: 1-line block ×6, first 2 shown]
	ds_write2_b32 v25, v19, v44 offset1:91
	ds_write2_b32 v43, v45, v46 offset0:54 offset1:145
	ds_write2_b32 v42, v47, v48 offset0:108 offset1:199
	ds_write_b32 v25, v49 offset:2184
	s_waitcnt lgkmcnt(0)
	s_barrier
	buffer_gl0_inv
	s_and_saveexec_b32 s1, vcc_lo
	s_cbranch_execz .LBB0_9
; %bb.8:
	v_add_co_u32 v47, s0, s20, v25
	v_add_co_ci_u32_e64 v48, null, s21, 0, s0
	v_add_nc_u32_e32 v64, 0x600, v25
	v_add_co_u32 v43, s0, 0x800, v47
	v_add_co_ci_u32_e64 v44, s0, 0, v48, s0
	v_add_co_u32 v45, s0, 0x9f4, v47
	v_add_co_ci_u32_e64 v46, s0, 0, v48, s0
	s_clause 0x6
	global_load_dword v49, v[43:44], off offset:500
	global_load_dword v50, v[45:46], off offset:196
	;; [unrolled: 1-line block ×7, first 2 shown]
	v_add_co_u32 v43, s0, 0x1000, v47
	v_add_co_ci_u32_e64 v44, s0, 0, v48, s0
	s_clause 0x5
	global_load_dword v58, v[45:46], off offset:1372
	global_load_dword v59, v[45:46], off offset:1568
	;; [unrolled: 1-line block ×6, first 2 shown]
	ds_read2_b32 v[43:44], v25 offset1:49
	s_waitcnt lgkmcnt(0)
	v_lshrrev_b32_e32 v45, 16, v43
	v_lshrrev_b32_e32 v46, 16, v44
	s_waitcnt vmcnt(12)
	v_mul_f16_sdwa v47, v45, v49 dst_sel:DWORD dst_unused:UNUSED_PAD src0_sel:DWORD src1_sel:WORD_1
	v_mul_f16_sdwa v48, v43, v49 dst_sel:DWORD dst_unused:UNUSED_PAD src0_sel:DWORD src1_sel:WORD_1
	s_waitcnt vmcnt(11)
	v_mul_f16_sdwa v51, v46, v50 dst_sel:DWORD dst_unused:UNUSED_PAD src0_sel:DWORD src1_sel:WORD_1
	v_mul_f16_sdwa v52, v44, v50 dst_sel:DWORD dst_unused:UNUSED_PAD src0_sel:DWORD src1_sel:WORD_1
	v_fma_f16 v43, v43, v49, -v47
	v_fmac_f16_e32 v48, v45, v49
	v_fma_f16 v44, v44, v50, -v51
	v_fmac_f16_e32 v52, v46, v50
	v_pack_b32_f16 v43, v43, v48
	v_pack_b32_f16 v44, v44, v52
	ds_write2_b32 v25, v43, v44 offset1:49
	ds_read2_b32 v[43:44], v25 offset0:98 offset1:147
	ds_read2_b32 v[45:46], v25 offset0:196 offset1:245
	;; [unrolled: 1-line block ×5, first 2 shown]
	ds_read_b32 v65, v25 offset:2352
	s_waitcnt lgkmcnt(5)
	v_lshrrev_b32_e32 v66, 16, v43
	s_waitcnt vmcnt(10)
	v_mul_f16_sdwa v67, v43, v53 dst_sel:DWORD dst_unused:UNUSED_PAD src0_sel:DWORD src1_sel:WORD_1
	v_lshrrev_b32_e32 v68, 16, v44
	s_waitcnt vmcnt(9)
	v_mul_f16_sdwa v69, v44, v54 dst_sel:DWORD dst_unused:UNUSED_PAD src0_sel:DWORD src1_sel:WORD_1
	s_waitcnt lgkmcnt(4)
	v_lshrrev_b32_e32 v70, 16, v45
	s_waitcnt vmcnt(8)
	v_mul_f16_sdwa v71, v45, v55 dst_sel:DWORD dst_unused:UNUSED_PAD src0_sel:DWORD src1_sel:WORD_1
	v_lshrrev_b32_e32 v72, 16, v46
	s_waitcnt vmcnt(7)
	v_mul_f16_sdwa v73, v46, v56 dst_sel:DWORD dst_unused:UNUSED_PAD src0_sel:DWORD src1_sel:WORD_1
	;; [unrolled: 7-line block ×4, first 2 shown]
	s_waitcnt lgkmcnt(1)
	v_lshrrev_b32_e32 v82, 16, v51
	s_waitcnt vmcnt(0)
	v_mul_f16_sdwa v83, v51, v63 dst_sel:DWORD dst_unused:UNUSED_PAD src0_sel:DWORD src1_sel:WORD_1
	v_lshrrev_b32_e32 v84, 16, v52
	v_mul_f16_sdwa v85, v52, v61 dst_sel:DWORD dst_unused:UNUSED_PAD src0_sel:DWORD src1_sel:WORD_1
	s_waitcnt lgkmcnt(0)
	v_lshrrev_b32_e32 v86, 16, v65
	v_mul_f16_sdwa v88, v66, v53 dst_sel:DWORD dst_unused:UNUSED_PAD src0_sel:DWORD src1_sel:WORD_1
	v_fmac_f16_e32 v67, v66, v53
	v_mul_f16_sdwa v66, v68, v54 dst_sel:DWORD dst_unused:UNUSED_PAD src0_sel:DWORD src1_sel:WORD_1
	v_fmac_f16_e32 v69, v68, v54
	;; [unrolled: 2-line block ×9, first 2 shown]
	v_mul_f16_sdwa v82, v84, v61 dst_sel:DWORD dst_unused:UNUSED_PAD src0_sel:DWORD src1_sel:WORD_1
	v_mul_f16_sdwa v87, v65, v62 dst_sel:DWORD dst_unused:UNUSED_PAD src0_sel:DWORD src1_sel:WORD_1
	v_fmac_f16_e32 v85, v84, v61
	v_mul_f16_sdwa v84, v86, v62 dst_sel:DWORD dst_unused:UNUSED_PAD src0_sel:DWORD src1_sel:WORD_1
	v_fma_f16 v43, v43, v53, -v88
	v_fma_f16 v44, v44, v54, -v66
	v_fma_f16 v45, v45, v55, -v68
	v_fma_f16 v46, v46, v56, -v70
	v_fma_f16 v47, v47, v57, -v72
	v_fma_f16 v48, v48, v58, -v74
	v_fma_f16 v49, v49, v59, -v76
	v_fma_f16 v50, v50, v60, -v78
	v_fma_f16 v51, v51, v63, -v80
	v_fma_f16 v52, v52, v61, -v82
	v_fmac_f16_e32 v87, v86, v62
	v_fma_f16 v53, v65, v62, -v84
	v_pack_b32_f16 v43, v43, v67
	v_pack_b32_f16 v44, v44, v69
	;; [unrolled: 1-line block ×11, first 2 shown]
	ds_write2_b32 v25, v43, v44 offset0:98 offset1:147
	ds_write2_b32 v25, v45, v46 offset0:196 offset1:245
	ds_write2_b32 v42, v47, v48 offset0:38 offset1:87
	ds_write2_b32 v42, v49, v50 offset0:136 offset1:185
	ds_write2_b32 v64, v51, v52 offset0:106 offset1:155
	ds_write_b32 v25, v53 offset:2352
.LBB0_9:
	s_or_b32 exec_lo, exec_lo, s1
	s_waitcnt lgkmcnt(0)
	s_barrier
	buffer_gl0_inv
	s_and_saveexec_b32 s0, vcc_lo
	s_cbranch_execz .LBB0_11
; %bb.10:
	v_add_nc_u32_e32 v9, 0x400, v25
	v_add_nc_u32_e32 v10, 0x600, v25
	ds_read2_b32 v[19:20], v25 offset1:49
	ds_read2_b32 v[23:24], v25 offset0:98 offset1:147
	ds_read2_b32 v[21:22], v25 offset0:196 offset1:245
	;; [unrolled: 1-line block ×5, first 2 shown]
	ds_read_b32 v28, v25 offset:2352
	s_waitcnt lgkmcnt(5)
	v_lshrrev_b32_e32 v40, 16, v23
	v_lshrrev_b32_e32 v41, 16, v20
	;; [unrolled: 1-line block ×3, first 2 shown]
	s_waitcnt lgkmcnt(4)
	v_lshrrev_b32_e32 v38, 16, v21
	v_lshrrev_b32_e32 v37, 16, v22
	s_waitcnt lgkmcnt(3)
	v_lshrrev_b32_e32 v36, 16, v13
	v_lshrrev_b32_e32 v34, 16, v14
	;; [unrolled: 3-line block ×4, first 2 shown]
	s_waitcnt lgkmcnt(0)
	v_lshrrev_b32_e32 v29, 16, v28
.LBB0_11:
	s_or_b32 exec_lo, exec_lo, s0
	s_barrier
	buffer_gl0_inv
	s_and_saveexec_b32 s0, vcc_lo
	s_cbranch_execz .LBB0_13
; %bb.12:
	v_add_f16_e32 v62, v29, v41
	v_sub_f16_e32 v46, v20, v28
	v_add_f16_e32 v63, v30, v40
	v_sub_f16_e32 v45, v23, v10
	v_add_f16_e32 v64, v31, v39
	v_mul_f16_e32 v65, 0xbbc4, v62
	v_sub_f16_e32 v43, v24, v9
	v_mul_f16_e32 v67, 0x3b15, v63
	v_add_f16_e32 v66, v32, v38
	v_mul_f16_e32 v69, 0xb9fd, v64
	v_fmamk_f16 v47, v46, 0x33a8, v65
	v_sub_f16_e32 v42, v21, v12
	v_fmamk_f16 v49, v45, 0xb770, v67
	v_add_f16_e32 v68, v33, v37
	v_sub_f16_e32 v70, v41, v29
	v_add_f16_sdwa v47, v47, v19 dst_sel:DWORD dst_unused:UNUSED_PAD src0_sel:DWORD src1_sel:WORD_1
	v_mul_f16_e32 v71, 0x388b, v66
	v_fmamk_f16 v50, v43, 0x394e, v69
	v_sub_f16_e32 v44, v22, v11
	v_add_f16_e32 v48, v28, v20
	v_add_f16_e32 v47, v49, v47
	v_sub_f16_e32 v72, v40, v30
	v_mul_f16_e32 v73, 0xb5ac, v68
	v_mul_f16_e32 v74, 0xb3a8, v70
	v_fmamk_f16 v49, v42, 0xba95, v71
	v_add_f16_e32 v47, v50, v47
	v_add_f16_e32 v50, v10, v23
	v_mul_f16_e32 v75, 0x3770, v72
	v_fmamk_f16 v51, v44, 0x3b7b, v73
	v_fmamk_f16 v52, v48, 0xbbc4, v74
	v_add_f16_e32 v47, v49, v47
	v_sub_f16_e32 v77, v39, v31
	v_add_f16_e32 v76, v34, v36
	v_fmamk_f16 v53, v50, 0x3b15, v75
	v_add_f16_e32 v52, v52, v19
	v_add_f16_e32 v47, v51, v47
	;; [unrolled: 1-line block ×3, first 2 shown]
	v_mul_f16_e32 v78, 0xb94e, v77
	v_sub_f16_e32 v80, v38, v32
	v_mul_f16_e32 v79, 0x2fb7, v76
	v_sub_f16_e32 v49, v13, v14
	v_add_f16_e32 v53, v53, v52
	v_fmamk_f16 v54, v51, 0xb9fd, v78
	v_add_f16_e32 v52, v12, v21
	v_mul_f16_e32 v81, 0x3a95, v80
	v_sub_f16_e32 v82, v37, v33
	v_fmamk_f16 v55, v49, 0xbbf1, v79
	v_add_f16_e32 v54, v54, v53
	v_add_f16_e32 v53, v11, v22
	v_fmamk_f16 v56, v52, 0x388b, v81
	v_mul_f16_e32 v84, 0xbb7b, v82
	v_sub_f16_e32 v85, v36, v34
	v_add_f16_e32 v47, v55, v47
	v_mul_f16_e32 v89, 0xb94e, v70
	v_add_f16_e32 v55, v56, v54
	v_fmamk_f16 v57, v53, 0xb5ac, v84
	v_add_f16_e32 v54, v14, v13
	v_mul_f16_e32 v87, 0x3bf1, v85
	v_mul_f16_e32 v91, 0x3bf1, v72
	;; [unrolled: 1-line block ×3, first 2 shown]
	v_add_f16_e32 v55, v57, v55
	v_mul_f16_e32 v95, 0x33a8, v80
	v_fmamk_f16 v57, v54, 0x2fb7, v87
	v_fmamk_f16 v59, v50, 0x2fb7, v91
	v_mul_f16_e32 v97, 0x3770, v82
	v_mul_f16_e32 v99, 0xbb7b, v85
	;; [unrolled: 1-line block ×3, first 2 shown]
	v_add_f16_e32 v55, v57, v55
	v_fmamk_f16 v57, v48, 0xb9fd, v89
	v_mul_f16_e32 v103, 0x394e, v72
	v_mul_f16_e32 v105, 0x3770, v77
	;; [unrolled: 1-line block ×4, first 2 shown]
	v_add_f16_e32 v57, v57, v19
	v_fmamk_f16 v61, v50, 0xb9fd, v103
	v_mul_f16_e32 v111, 0x3a95, v85
	v_mul_f16_e32 v114, 0xbbf1, v70
	;; [unrolled: 1-line block ×3, first 2 shown]
	v_add_f16_e32 v57, v59, v57
	v_fmamk_f16 v59, v51, 0x388b, v93
	v_mul_f16_e32 v119, 0x3b7b, v77
	v_mul_f16_e32 v121, 0x3770, v80
	v_fmamk_f16 v118, v50, 0xbbc4, v116
	v_mul_f16_e32 v123, 0xba95, v82
	v_add_f16_e32 v57, v59, v57
	v_fmamk_f16 v59, v52, 0xbbc4, v95
	v_mul_f16_e32 v125, 0xb94e, v85
	v_mul_f16_e32 v128, 0xba95, v70
	;; [unrolled: 1-line block ×4, first 2 shown]
	v_add_f16_e32 v57, v59, v57
	v_fmamk_f16 v59, v53, 0x3b15, v97
	v_mul_f16_e32 v135, 0x394e, v80
	v_fmamk_f16 v132, v50, 0xb5ac, v130
	v_mul_f16_e32 v83, 0xb9fd, v62
	v_mul_f16_e32 v136, 0x3bf1, v82
	v_add_f16_e32 v57, v59, v57
	v_fmamk_f16 v59, v54, 0xb5ac, v99
	v_mul_f16_e32 v86, 0x2fb7, v63
	v_fmamk_f16 v56, v46, 0x394e, v83
	v_mul_f16_e32 v137, 0x3770, v85
	v_mul_f16_e32 v88, 0x388b, v64
	v_add_f16_e32 v57, v59, v57
	v_fmamk_f16 v59, v48, 0xb5ac, v101
	v_add_f16_sdwa v56, v56, v19 dst_sel:DWORD dst_unused:UNUSED_PAD src0_sel:DWORD src1_sel:WORD_1
	v_fmamk_f16 v58, v45, 0xbbf1, v86
	v_mul_f16_e32 v70, 0xb770, v70
	v_mul_f16_e32 v90, 0xbbc4, v66
	v_add_f16_e32 v59, v59, v19
	v_mul_f16_e32 v72, 0xba95, v72
	v_add_f16_e32 v56, v58, v56
	v_fmamk_f16 v58, v43, 0x3a95, v88
	v_mul_f16_e32 v92, 0x3b15, v68
	v_add_f16_e32 v59, v61, v59
	v_fmamk_f16 v61, v51, 0x3b15, v105
	v_fmamk_f16 v139, v50, 0x388b, v72
	v_add_f16_e32 v56, v58, v56
	v_fmamk_f16 v58, v42, 0xb3a8, v90
	v_mul_f16_e32 v77, 0xbbf1, v77
	v_add_f16_e32 v59, v61, v59
	v_fmamk_f16 v61, v52, 0x2fb7, v107
	v_mul_f16_e32 v94, 0xb5ac, v76
	;; [unrolled: 3-line block ×3, first 2 shown]
	v_add_f16_e32 v59, v61, v59
	v_fmamk_f16 v61, v53, 0xbbc4, v109
	v_fmac_f16_e32 v65, 0xb3a8, v46
	v_add_f16_e32 v56, v58, v56
	v_fmamk_f16 v58, v49, 0x3b7b, v94
	v_mul_f16_e32 v96, 0xb5ac, v62
	v_add_f16_e32 v59, v61, v59
	v_fmamk_f16 v61, v54, 0x388b, v111
	v_add_f16_sdwa v65, v65, v19 dst_sel:DWORD dst_unused:UNUSED_PAD src0_sel:DWORD src1_sel:WORD_1
	v_fmac_f16_e32 v67, 0x3770, v45
	v_mul_f16_e32 v82, 0xb94e, v82
	v_fma_f16 v74, v48, 0xbbc4, -v74
	v_add_f16_e32 v59, v61, v59
	v_fmamk_f16 v61, v48, 0x2fb7, v114
	v_add_f16_e32 v56, v58, v56
	v_fmamk_f16 v58, v46, 0x3b7b, v96
	v_mul_f16_e32 v98, 0xb9fd, v63
	v_add_f16_e32 v65, v67, v65
	v_add_f16_e32 v61, v61, v19
	v_fmac_f16_e32 v69, 0xb94e, v43
	v_fmamk_f16 v67, v53, 0xb9fd, v82
	v_mul_f16_e32 v85, 0xb3a8, v85
	v_add_f16_e32 v74, v74, v19
	v_add_f16_e32 v61, v118, v61
	v_fmamk_f16 v118, v51, 0xb5ac, v119
	v_fma_f16 v75, v50, 0x3b15, -v75
	v_add_f16_sdwa v58, v58, v19 dst_sel:DWORD dst_unused:UNUSED_PAD src0_sel:DWORD src1_sel:WORD_1
	v_fmamk_f16 v60, v45, 0xb94e, v98
	v_mul_f16_e32 v100, 0x3b15, v64
	v_add_f16_e32 v61, v118, v61
	v_fmamk_f16 v118, v52, 0x3b15, v121
	v_add_f16_e32 v65, v69, v65
	v_fmac_f16_e32 v71, 0x3a95, v42
	v_fmamk_f16 v69, v54, 0xbbc4, v85
	v_add_f16_e32 v74, v75, v74
	v_add_f16_e32 v61, v118, v61
	v_fmamk_f16 v118, v53, 0x388b, v123
	v_fma_f16 v75, v51, 0xb9fd, -v78
	v_add_f16_e32 v58, v60, v58
	v_fmamk_f16 v60, v43, 0xb770, v100
	v_mul_f16_e32 v102, 0x2fb7, v66
	v_add_f16_e32 v61, v118, v61
	v_fmamk_f16 v118, v54, 0xb9fd, v125
	v_add_f16_e32 v65, v71, v65
	v_fma_f16 v71, v52, 0x388b, -v81
	v_add_f16_e32 v58, v60, v58
	v_fmamk_f16 v60, v42, 0x3bf1, v102
	v_add_f16_e32 v61, v118, v61
	v_fmamk_f16 v118, v48, 0x388b, v128
	v_mul_f16_e32 v104, 0xbbc4, v68
	v_mul_f16_e32 v106, 0x388b, v76
	v_add_f16_e32 v58, v60, v58
	v_mul_f16_e32 v108, 0x2fb7, v62
	v_add_f16_e32 v118, v118, v19
	v_fmamk_f16 v60, v44, 0xb3a8, v104
	v_fmac_f16_e32 v96, 0xbb7b, v46
	v_mul_f16_e32 v110, 0xbbc4, v63
	v_fmac_f16_e32 v73, 0xbb7b, v44
	v_add_f16_e32 v118, v132, v118
	v_fmamk_f16 v132, v51, 0xbbc4, v133
	v_add_f16_e32 v58, v60, v58
	v_fmamk_f16 v60, v49, 0xba95, v106
	v_add_f16_sdwa v78, v96, v19 dst_sel:DWORD dst_unused:UNUSED_PAD src0_sel:DWORD src1_sel:WORD_1
	v_fmac_f16_e32 v98, 0x394e, v45
	v_add_f16_e32 v118, v132, v118
	v_fmamk_f16 v132, v52, 0xb9fd, v135
	v_add_f16_e32 v58, v60, v58
	v_fmamk_f16 v60, v46, 0x3bf1, v108
	v_fmamk_f16 v112, v45, 0x33a8, v110
	v_mul_f16_e32 v113, 0xb5ac, v64
	v_add_f16_e32 v118, v132, v118
	v_fmamk_f16 v132, v53, 0x2fb7, v136
	v_add_f16_sdwa v60, v60, v19 dst_sel:DWORD dst_unused:UNUSED_PAD src0_sel:DWORD src1_sel:WORD_1
	v_add_f16_e32 v65, v73, v65
	v_fmac_f16_e32 v79, 0x3bf1, v49
	v_mul_f16_e32 v115, 0x3b15, v66
	v_add_f16_e32 v118, v132, v118
	v_fmamk_f16 v132, v54, 0x3b15, v137
	v_add_f16_e32 v60, v112, v60
	v_fmamk_f16 v112, v43, 0xbb7b, v113
	v_add_f16_e32 v65, v79, v65
	v_fma_f16 v79, v50, 0xb9fd, -v103
	v_add_f16_e32 v118, v132, v118
	v_fmamk_f16 v132, v48, 0x3b15, v70
	v_add_f16_e32 v60, v112, v60
	v_fmamk_f16 v112, v42, 0xb770, v115
	v_mul_f16_e32 v117, 0x388b, v68
	v_fmac_f16_e32 v83, 0xb94e, v46
	v_add_f16_e32 v132, v132, v19
	v_fmac_f16_e32 v108, 0xbbf1, v46
	v_add_f16_e32 v60, v112, v60
	v_fmamk_f16 v112, v44, 0x3a95, v117
	v_mul_f16_e32 v120, 0xb9fd, v76
	v_add_f16_e32 v132, v139, v132
	v_fmamk_f16 v139, v51, 0x2fb7, v77
	v_add_f16_sdwa v73, v83, v19 dst_sel:DWORD dst_unused:UNUSED_PAD src0_sel:DWORD src1_sel:WORD_1
	v_add_f16_sdwa v81, v108, v19 dst_sel:DWORD dst_unused:UNUSED_PAD src0_sel:DWORD src1_sel:WORD_1
	v_fmac_f16_e32 v110, 0xb3a8, v45
	v_fma_f16 v83, v50, 0xbbc4, -v116
	v_add_f16_e32 v132, v139, v132
	v_fmamk_f16 v139, v52, 0xb5ac, v80
	v_add_f16_e32 v60, v112, v60
	v_fmamk_f16 v112, v49, 0x394e, v120
	v_mul_f16_e32 v122, 0x388b, v62
	v_add_f16_e32 v81, v110, v81
	v_add_f16_e32 v132, v139, v132
	v_fmac_f16_e32 v113, 0x3b7b, v43
	v_add_f16_e32 v60, v112, v60
	v_fmamk_f16 v112, v46, 0x3a95, v122
	v_mul_f16_e32 v124, 0xb5ac, v63
	v_add_f16_e32 v67, v67, v132
	v_fmac_f16_e32 v122, 0xba95, v46
	v_mul_f16_e32 v127, 0xbbc4, v64
	v_add_f16_sdwa v112, v112, v19 dst_sel:DWORD dst_unused:UNUSED_PAD src0_sel:DWORD src1_sel:WORD_1
	v_fmamk_f16 v126, v45, 0x3b7b, v124
	v_add_f16_e32 v67, v69, v67
	v_add_f16_e32 v69, v75, v74
	v_fma_f16 v74, v48, 0xb9fd, -v89
	v_fma_f16 v75, v54, 0x2fb7, -v87
	v_fmac_f16_e32 v124, 0xbb7b, v45
	v_add_f16_e32 v112, v126, v112
	v_add_f16_e32 v69, v71, v69
	v_fma_f16 v71, v53, 0xb5ac, -v84
	v_add_f16_sdwa v84, v122, v19 dst_sel:DWORD dst_unused:UNUSED_PAD src0_sel:DWORD src1_sel:WORD_1
	v_fmamk_f16 v126, v43, 0x33a8, v127
	v_fmac_f16_e32 v127, 0xb3a8, v43
	v_add_f16_sdwa v41, v41, v19 dst_sel:DWORD dst_unused:UNUSED_PAD src0_sel:DWORD src1_sel:WORD_1
	v_add_f16_e32 v69, v71, v69
	v_add_f16_e32 v71, v74, v19
	v_fma_f16 v74, v50, 0x2fb7, -v91
	v_add_f16_e32 v84, v124, v84
	v_add_f16_e32 v20, v20, v19
	;; [unrolled: 1-line block ×5, first 2 shown]
	v_fma_f16 v74, v51, 0x388b, -v93
	v_fma_f16 v78, v48, 0xb5ac, -v101
	v_add_f16_e32 v40, v40, v41
	v_add_f16_e32 v20, v23, v20
	v_mul_f16_e32 v129, 0xb9fd, v66
	v_add_f16_e32 v71, v74, v71
	v_fma_f16 v74, v52, 0xbbc4, -v95
	v_add_f16_e32 v78, v78, v19
	v_fma_f16 v41, v51, 0xbbc4, -v133
	v_add_f16_e32 v39, v39, v40
	v_add_f16_e32 v20, v24, v20
	v_add_f16_e32 v71, v74, v71
	v_fma_f16 v74, v53, 0x3b15, -v97
	v_add_f16_e32 v112, v126, v112
	v_fmamk_f16 v126, v42, 0xb94e, v129
	v_mul_f16_e32 v131, 0x2fb7, v68
	v_fma_f16 v24, v52, 0xb9fd, -v135
	v_add_f16_e32 v71, v74, v71
	v_fma_f16 v74, v54, 0xb5ac, -v99
	v_add_f16_e32 v38, v38, v39
	v_add_f16_e32 v20, v21, v20
	;; [unrolled: 1-line block ×3, first 2 shown]
	v_fmamk_f16 v126, v44, 0xbbf1, v131
	v_add_f16_e32 v71, v74, v71
	v_add_f16_e32 v74, v79, v78
	v_fma_f16 v78, v51, 0x3b15, -v105
	v_fma_f16 v79, v48, 0x2fb7, -v114
	v_mul_f16_e32 v134, 0x3b15, v76
	v_add_f16_e32 v20, v22, v20
	v_add_f16_e32 v112, v126, v112
	;; [unrolled: 1-line block ×3, first 2 shown]
	v_fma_f16 v78, v52, 0x2fb7, -v107
	v_add_f16_e32 v79, v79, v19
	v_fmamk_f16 v126, v49, 0xb770, v134
	v_mul_f16_e32 v62, 0x3b15, v62
	v_fma_f16 v22, v53, 0x2fb7, -v136
	v_add_f16_e32 v74, v78, v74
	v_fma_f16 v78, v53, 0xbbc4, -v109
	v_add_f16_e32 v79, v83, v79
	;; [unrolled: 2-line block ×3, first 2 shown]
	v_add_f16_e32 v112, v126, v112
	v_add_f16_e32 v74, v78, v74
	;; [unrolled: 1-line block ×4, first 2 shown]
	v_fma_f16 v81, v52, 0x3b15, -v121
	v_fma_f16 v83, v54, 0x388b, -v111
	v_fmamk_f16 v126, v46, 0x3770, v62
	v_mul_f16_e32 v63, 0x388b, v63
	v_fmac_f16_e32 v62, 0xb770, v46
	v_add_f16_e32 v79, v81, v79
	v_fma_f16 v81, v53, 0x388b, -v123
	v_add_f16_e32 v74, v83, v74
	v_fma_f16 v83, v48, 0x388b, -v128
	v_add_f16_e32 v13, v14, v13
	v_add_f16_sdwa v126, v126, v19 dst_sel:DWORD dst_unused:UNUSED_PAD src0_sel:DWORD src1_sel:WORD_1
	v_add_f16_e32 v79, v81, v79
	v_fma_f16 v81, v54, 0xb9fd, -v125
	v_add_f16_e32 v83, v83, v19
	v_fmamk_f16 v138, v45, 0x3a95, v63
	v_mul_f16_e32 v64, 0x2fb7, v64
	v_fmac_f16_e32 v63, 0xba95, v45
	v_add_f16_e32 v79, v81, v79
	v_add_f16_e32 v81, v127, v84
	v_fma_f16 v84, v50, 0xb5ac, -v130
	v_add_f16_e32 v11, v11, v13
	v_add_f16_e32 v126, v138, v126
	v_fmamk_f16 v138, v43, 0x3bf1, v64
	v_mul_f16_e32 v66, 0xb5ac, v66
	v_add_f16_e32 v23, v84, v83
	v_fmac_f16_e32 v86, 0x3bf1, v45
	v_fmac_f16_e32 v64, 0xbbf1, v43
	v_add_f16_e32 v11, v12, v11
	v_add_f16_e32 v126, v138, v126
	;; [unrolled: 1-line block ×3, first 2 shown]
	v_fmamk_f16 v138, v42, 0x3b7b, v66
	v_mul_f16_e32 v68, 0xb9fd, v68
	v_add_f16_e32 v73, v86, v73
	v_fmac_f16_e32 v88, 0xba95, v43
	v_add_f16_e32 v23, v24, v23
	v_add_f16_e32 v24, v37, v38
	v_add_f16_sdwa v37, v62, v19 dst_sel:DWORD dst_unused:UNUSED_PAD src0_sel:DWORD src1_sel:WORD_1
	v_fmac_f16_e32 v100, 0x3770, v43
	v_fma_f16 v12, v51, 0x2fb7, -v77
	v_add_f16_e32 v20, v22, v23
	v_add_f16_e32 v24, v36, v24
	v_fma_f16 v22, v48, 0x3b15, -v70
	v_add_f16_e32 v23, v63, v37
	v_fmac_f16_e32 v66, 0xbb7b, v42
	v_add_f16_e32 v9, v9, v11
	v_add_f16_e32 v24, v34, v24
	v_add_f16_e32 v14, v22, v19
	v_fma_f16 v19, v50, 0x388b, -v72
	v_add_f16_e32 v13, v64, v23
	v_add_f16_e32 v126, v138, v126
	v_add_f16_e32 v22, v33, v24
	v_fmamk_f16 v138, v44, 0x394e, v68
	v_add_f16_e32 v14, v19, v14
	v_mul_f16_e32 v76, 0xbbc4, v76
	v_add_f16_e32 v73, v88, v73
	v_add_f16_e32 v19, v32, v22
	v_fmac_f16_e32 v90, 0x33a8, v42
	v_add_f16_e32 v75, v100, v75
	v_fmac_f16_e32 v102, 0xbbf1, v42
	v_fmac_f16_e32 v115, 0x3770, v42
	v_add_f16_e32 v19, v31, v19
	v_fmac_f16_e32 v129, 0x394e, v42
	v_add_f16_e32 v11, v12, v14
	v_fma_f16 v12, v52, 0xb5ac, -v80
	v_add_f16_e32 v13, v66, v13
	v_fmac_f16_e32 v68, 0xb94e, v44
	v_add_f16_e32 v19, v30, v19
	v_add_f16_e32 v9, v10, v9
	;; [unrolled: 1-line block ×3, first 2 shown]
	v_fmamk_f16 v138, v49, 0x33a8, v76
	v_add_f16_e32 v73, v90, v73
	v_fmac_f16_e32 v92, 0x3770, v44
	v_add_f16_e32 v75, v102, v75
	v_fmac_f16_e32 v104, 0x33a8, v44
	;; [unrolled: 2-line block ×4, first 2 shown]
	v_add_f16_e32 v11, v12, v11
	v_fma_f16 v12, v53, 0xb9fd, -v82
	v_add_f16_e32 v10, v68, v13
	v_add_f16_sdwa v13, v29, v19 dst_sel:WORD_1 dst_unused:UNUSED_PAD src0_sel:DWORD src1_sel:DWORD
	v_add_f16_e32 v9, v28, v9
	v_mov_b32_e32 v19, 2
	v_add_f16_e32 v126, v138, v126
	v_add_f16_e32 v73, v92, v73
	v_fmac_f16_e32 v94, 0xbb7b, v49
	v_add_f16_e32 v75, v104, v75
	v_fmac_f16_e32 v106, 0x3a95, v49
	;; [unrolled: 2-line block ×4, first 2 shown]
	v_fma_f16 v14, v54, 0x3b15, -v137
	v_fmac_f16_e32 v76, 0xb3a8, v49
	v_add_f16_e32 v11, v12, v11
	v_fma_f16 v12, v54, 0xbbc4, -v85
	v_or_b32_sdwa v9, v13, v9 dst_sel:DWORD dst_unused:UNUSED_PAD src0_sel:DWORD src1_sel:WORD_0
	v_lshlrev_b32_sdwa v13, v19, v27 dst_sel:DWORD dst_unused:UNUSED_PAD src0_sel:DWORD src1_sel:WORD_0
	v_pack_b32_f16 v19, v118, v112
	v_pack_b32_f16 v22, v67, v126
	v_add_f16_e32 v73, v94, v73
	v_add_f16_e32 v75, v106, v75
	;; [unrolled: 1-line block ×7, first 2 shown]
	ds_write_b32 v13, v9
	ds_write2_b32 v13, v22, v19 offset0:1 offset1:2
	v_pack_b32_f16 v9, v59, v58
	v_pack_b32_f16 v12, v61, v60
	;; [unrolled: 1-line block ×10, first 2 shown]
	ds_write2_b32 v13, v12, v9 offset0:3 offset1:4
	ds_write2_b32 v13, v20, v19 offset0:5 offset1:6
	;; [unrolled: 1-line block ×5, first 2 shown]
.LBB0_13:
	s_or_b32 exec_lo, exec_lo, s0
	s_waitcnt lgkmcnt(0)
	s_barrier
	buffer_gl0_inv
	ds_read2_b32 v[11:12], v25 offset1:91
	v_add_nc_u32_e32 v10, 0x200, v25
	v_add_nc_u32_e32 v9, 0x400, v25
	ds_read_b32 v21, v25 offset:2184
	ds_read2_b32 v[13:14], v10 offset0:54 offset1:145
	ds_read2_b32 v[19:20], v9 offset0:108 offset1:199
	s_waitcnt lgkmcnt(0)
	s_barrier
	buffer_gl0_inv
	v_lshrrev_b32_e32 v22, 16, v12
	v_mul_f16_sdwa v24, v0, v12 dst_sel:DWORD dst_unused:UNUSED_PAD src0_sel:WORD_1 src1_sel:DWORD
	v_lshrrev_b32_e32 v23, 16, v21
	v_lshrrev_b32_e32 v28, 16, v13
	;; [unrolled: 1-line block ×3, first 2 shown]
	v_mul_f16_sdwa v32, v0, v22 dst_sel:DWORD dst_unused:UNUSED_PAD src0_sel:WORD_1 src1_sel:DWORD
	v_fma_f16 v22, v0, v22, -v24
	v_mul_f16_sdwa v24, v1, v13 dst_sel:DWORD dst_unused:UNUSED_PAD src0_sel:WORD_1 src1_sel:DWORD
	v_mul_f16_sdwa v27, v16, v21 dst_sel:DWORD dst_unused:UNUSED_PAD src0_sel:WORD_1 src1_sel:DWORD
	v_lshrrev_b32_e32 v30, 16, v19
	v_lshrrev_b32_e32 v31, 16, v20
	v_mul_f16_sdwa v33, v2, v14 dst_sel:DWORD dst_unused:UNUSED_PAD src0_sel:WORD_1 src1_sel:DWORD
	v_mul_f16_sdwa v36, v15, v20 dst_sel:DWORD dst_unused:UNUSED_PAD src0_sel:WORD_1 src1_sel:DWORD
	v_fmac_f16_e32 v32, v0, v12
	v_fma_f16 v12, v1, v28, -v24
	v_mul_f16_sdwa v24, v2, v29 dst_sel:DWORD dst_unused:UNUSED_PAD src0_sel:WORD_1 src1_sel:DWORD
	v_mul_f16_sdwa v34, v3, v19 dst_sel:DWORD dst_unused:UNUSED_PAD src0_sel:WORD_1 src1_sel:DWORD
	;; [unrolled: 1-line block ×3, first 2 shown]
	v_fma_f16 v23, v16, v23, -v27
	v_mul_f16_sdwa v0, v1, v28 dst_sel:DWORD dst_unused:UNUSED_PAD src0_sel:WORD_1 src1_sel:DWORD
	v_fma_f16 v27, v2, v29, -v33
	v_mul_f16_sdwa v28, v3, v30 dst_sel:DWORD dst_unused:UNUSED_PAD src0_sel:WORD_1 src1_sel:DWORD
	v_mul_f16_sdwa v29, v15, v31 dst_sel:DWORD dst_unused:UNUSED_PAD src0_sel:WORD_1 src1_sel:DWORD
	v_fmac_f16_e32 v24, v2, v14
	v_fma_f16 v2, v15, v31, -v36
	v_fmac_f16_e32 v37, v16, v21
	v_fmac_f16_e32 v0, v1, v13
	;; [unrolled: 1-line block ×3, first 2 shown]
	v_fma_f16 v1, v3, v30, -v34
	v_fmac_f16_e32 v29, v15, v20
	v_add_f16_e32 v13, v22, v23
	v_add_f16_e32 v19, v12, v2
	;; [unrolled: 1-line block ×3, first 2 shown]
	v_sub_f16_e32 v15, v22, v23
	v_add_f16_e32 v16, v0, v29
	v_add_f16_e32 v20, v27, v1
	;; [unrolled: 1-line block ×3, first 2 shown]
	v_sub_f16_e32 v2, v12, v2
	v_add_f16_e32 v12, v24, v28
	v_sub_f16_e32 v1, v1, v27
	v_add_f16_e32 v22, v16, v3
	v_sub_f16_e32 v27, v19, v13
	v_sub_f16_e32 v13, v13, v20
	;; [unrolled: 1-line block ×3, first 2 shown]
	v_add_f16_e32 v20, v20, v23
	v_sub_f16_e32 v0, v0, v29
	v_sub_f16_e32 v21, v28, v24
	;; [unrolled: 1-line block ×5, first 2 shown]
	v_add_f16_e32 v12, v12, v22
	v_add_f16_sdwa v22, v20, v11 dst_sel:DWORD dst_unused:UNUSED_PAD src0_sel:DWORD src1_sel:WORD_1
	v_sub_f16_e32 v14, v32, v37
	v_add_f16_e32 v23, v21, v0
	v_add_f16_e32 v28, v1, v2
	v_sub_f16_e32 v29, v21, v0
	v_sub_f16_e32 v30, v1, v2
	v_add_f16_e32 v11, v12, v11
	v_lshlrev_b32_e32 v31, 16, v22
	v_sub_f16_e32 v0, v0, v14
	v_sub_f16_e32 v2, v2, v15
	;; [unrolled: 1-line block ×4, first 2 shown]
	v_add_f16_e32 v14, v23, v14
	v_add_f16_e32 v15, v28, v15
	v_or_b32_sdwa v23, v31, v11 dst_sel:DWORD dst_unused:UNUSED_PAD src0_sel:DWORD src1_sel:WORD_0
	v_mul_f16_e32 v3, 0x3a52, v3
	v_mul_f16_e32 v13, 0x3a52, v13
	;; [unrolled: 1-line block ×8, first 2 shown]
	v_fmac_f16_e32 v11, 0xbcab, v12
	v_fmac_f16_e32 v22, 0xbcab, v20
	v_fmamk_f16 v12, v16, 0x2b26, v3
	v_fmamk_f16 v16, v19, 0x2b26, v13
	v_fma_f16 v19, v24, 0x39e0, -v28
	v_fma_f16 v20, v27, 0x39e0, -v31
	;; [unrolled: 1-line block ×4, first 2 shown]
	v_fmamk_f16 v24, v21, 0xb574, v29
	v_fmamk_f16 v27, v1, 0xb574, v30
	v_fma_f16 v0, v0, 0xbb00, -v29
	v_fma_f16 v2, v2, 0xbb00, -v30
	;; [unrolled: 1-line block ×4, first 2 shown]
	v_add_f16_e32 v12, v12, v11
	v_add_f16_e32 v16, v16, v22
	v_fmac_f16_e32 v24, 0xb70e, v14
	v_fmac_f16_e32 v27, 0xb70e, v15
	v_add_f16_e32 v19, v19, v11
	v_add_f16_e32 v20, v20, v22
	;; [unrolled: 1-line block ×4, first 2 shown]
	v_fmac_f16_e32 v0, 0xb70e, v14
	v_fmac_f16_e32 v1, 0xb70e, v15
	;; [unrolled: 1-line block ×4, first 2 shown]
	v_add_f16_e32 v13, v27, v12
	v_sub_f16_e32 v14, v16, v24
	v_add_f16_e32 v15, v1, v3
	v_sub_f16_e32 v22, v11, v21
	v_sub_f16_e32 v28, v19, v2
	v_add_f16_e32 v29, v0, v20
	v_add_f16_e32 v2, v2, v19
	v_sub_f16_e32 v0, v20, v0
	v_sub_f16_e32 v1, v3, v1
	v_add_f16_e32 v3, v21, v11
	v_sub_f16_e32 v11, v12, v27
	v_add_f16_e32 v12, v24, v16
	v_pack_b32_f16 v13, v13, v14
	v_pack_b32_f16 v14, v15, v22
	;; [unrolled: 1-line block ×6, first 2 shown]
	ds_write2_b32 v35, v23, v13 offset1:13
	ds_write2_b32 v35, v14, v15 offset0:26 offset1:39
	ds_write2_b32 v35, v0, v1 offset0:52 offset1:65
	ds_write_b32 v35, v2 offset:312
	s_waitcnt lgkmcnt(0)
	s_barrier
	buffer_gl0_inv
	ds_read2_b32 v[0:1], v25 offset1:91
	ds_read2_b32 v[2:3], v10 offset0:54 offset1:145
	ds_read2_b32 v[11:12], v9 offset0:108 offset1:199
	ds_read_b32 v13, v25 offset:2184
	s_waitcnt lgkmcnt(3)
	v_lshrrev_b32_e32 v14, 16, v1
	s_waitcnt lgkmcnt(2)
	v_lshrrev_b32_e32 v15, 16, v2
	v_lshrrev_b32_e32 v16, 16, v3
	v_mul_f16_sdwa v20, v4, v1 dst_sel:DWORD dst_unused:UNUSED_PAD src0_sel:WORD_1 src1_sel:DWORD
	s_waitcnt lgkmcnt(1)
	v_lshrrev_b32_e32 v21, 16, v11
	v_mul_f16_sdwa v19, v4, v14 dst_sel:DWORD dst_unused:UNUSED_PAD src0_sel:WORD_1 src1_sel:DWORD
	v_mul_f16_sdwa v24, v6, v3 dst_sel:DWORD dst_unused:UNUSED_PAD src0_sel:WORD_1 src1_sel:DWORD
	v_lshrrev_b32_e32 v22, 16, v12
	s_waitcnt lgkmcnt(0)
	v_lshrrev_b32_e32 v23, 16, v13
	v_mul_f16_sdwa v27, v7, v21 dst_sel:DWORD dst_unused:UNUSED_PAD src0_sel:WORD_1 src1_sel:DWORD
	v_fmac_f16_e32 v19, v4, v1
	v_fma_f16 v1, v4, v14, -v20
	v_mul_f16_sdwa v4, v5, v15 dst_sel:DWORD dst_unused:UNUSED_PAD src0_sel:WORD_1 src1_sel:DWORD
	v_mul_f16_sdwa v14, v5, v2 dst_sel:DWORD dst_unused:UNUSED_PAD src0_sel:WORD_1 src1_sel:DWORD
	;; [unrolled: 1-line block ×3, first 2 shown]
	v_fmac_f16_e32 v27, v7, v11
	v_mul_f16_sdwa v11, v7, v11 dst_sel:DWORD dst_unused:UNUSED_PAD src0_sel:WORD_1 src1_sel:DWORD
	v_fmac_f16_e32 v4, v5, v2
	v_fma_f16 v2, v5, v15, -v14
	v_fmac_f16_e32 v20, v6, v3
	v_fma_f16 v3, v6, v16, -v24
	v_mul_f16_sdwa v6, v18, v13 dst_sel:DWORD dst_unused:UNUSED_PAD src0_sel:WORD_1 src1_sel:DWORD
	v_mul_f16_sdwa v15, v17, v12 dst_sel:DWORD dst_unused:UNUSED_PAD src0_sel:WORD_1 src1_sel:DWORD
	;; [unrolled: 1-line block ×4, first 2 shown]
	v_fma_f16 v7, v7, v21, -v11
	v_fma_f16 v6, v18, v23, -v6
	;; [unrolled: 1-line block ×3, first 2 shown]
	v_fmac_f16_e32 v5, v18, v13
	v_fmac_f16_e32 v14, v17, v12
	v_sub_f16_e32 v16, v27, v20
	v_add_f16_e32 v13, v1, v6
	v_add_f16_e32 v15, v2, v11
	;; [unrolled: 1-line block ×3, first 2 shown]
	v_sub_f16_e32 v1, v1, v6
	v_add_f16_e32 v6, v4, v14
	v_sub_f16_e32 v4, v4, v14
	v_add_f16_e32 v14, v3, v7
	v_add_f16_e32 v17, v15, v13
	v_sub_f16_e32 v5, v19, v5
	v_sub_f16_e32 v2, v2, v11
	v_add_f16_e32 v11, v20, v27
	v_sub_f16_e32 v3, v7, v3
	v_add_f16_e32 v7, v6, v12
	v_sub_f16_e32 v19, v15, v13
	v_sub_f16_e32 v13, v13, v14
	;; [unrolled: 1-line block ×3, first 2 shown]
	v_add_f16_e32 v14, v14, v17
	v_sub_f16_e32 v18, v6, v12
	v_sub_f16_e32 v12, v12, v11
	;; [unrolled: 1-line block ×3, first 2 shown]
	v_add_f16_e32 v7, v11, v7
	v_add_f16_sdwa v11, v14, v0 dst_sel:DWORD dst_unused:UNUSED_PAD src0_sel:DWORD src1_sel:WORD_1
	v_add_f16_e32 v17, v16, v4
	v_add_f16_e32 v20, v3, v2
	v_sub_f16_e32 v21, v16, v4
	v_sub_f16_e32 v22, v3, v2
	v_add_f16_e32 v0, v7, v0
	v_lshlrev_b32_e32 v23, 16, v11
	v_sub_f16_e32 v4, v4, v5
	v_sub_f16_e32 v2, v2, v1
	;; [unrolled: 1-line block ×4, first 2 shown]
	v_add_f16_e32 v5, v17, v5
	v_add_f16_e32 v1, v20, v1
	v_or_b32_sdwa v17, v23, v0 dst_sel:DWORD dst_unused:UNUSED_PAD src0_sel:DWORD src1_sel:WORD_0
	v_mul_f16_e32 v12, 0x3a52, v12
	v_mul_f16_e32 v13, 0x3a52, v13
	;; [unrolled: 1-line block ×8, first 2 shown]
	v_fmac_f16_e32 v0, 0xbcab, v7
	v_fmac_f16_e32 v11, 0xbcab, v14
	v_fmamk_f16 v6, v6, 0x2b26, v12
	v_fmamk_f16 v7, v15, 0x2b26, v13
	v_fma_f16 v14, v18, 0x39e0, -v20
	v_fma_f16 v15, v19, 0x39e0, -v23
	;; [unrolled: 1-line block ×4, first 2 shown]
	v_fmamk_f16 v18, v16, 0xb574, v21
	v_fmamk_f16 v19, v3, 0xb574, v22
	v_fma_f16 v4, v4, 0xbb00, -v21
	v_fma_f16 v2, v2, 0xbb00, -v22
	;; [unrolled: 1-line block ×4, first 2 shown]
	v_add_f16_e32 v6, v6, v0
	v_add_f16_e32 v7, v7, v11
	v_fmac_f16_e32 v18, 0xb70e, v5
	v_fmac_f16_e32 v19, 0xb70e, v1
	v_add_f16_e32 v14, v14, v0
	v_add_f16_e32 v15, v15, v11
	;; [unrolled: 1-line block ×4, first 2 shown]
	v_fmac_f16_e32 v4, 0xb70e, v5
	v_fmac_f16_e32 v3, 0xb70e, v1
	;; [unrolled: 1-line block ×4, first 2 shown]
	v_add_f16_e32 v1, v19, v6
	v_sub_f16_e32 v5, v7, v18
	v_add_f16_e32 v12, v3, v0
	v_sub_f16_e32 v13, v11, v16
	v_sub_f16_e32 v20, v14, v2
	v_add_f16_e32 v21, v4, v15
	v_add_f16_e32 v2, v2, v14
	v_sub_f16_e32 v4, v15, v4
	v_sub_f16_e32 v0, v0, v3
	v_add_f16_e32 v3, v16, v11
	v_sub_f16_e32 v6, v6, v19
	v_add_f16_e32 v7, v18, v7
	v_pack_b32_f16 v1, v1, v5
	v_pack_b32_f16 v5, v12, v13
	;; [unrolled: 1-line block ×6, first 2 shown]
	ds_write2_b32 v25, v17, v1 offset1:91
	ds_write2_b32 v10, v5, v11 offset0:54 offset1:145
	ds_write2_b32 v9, v2, v0 offset0:108 offset1:199
	ds_write_b32 v25, v3 offset:2184
	s_waitcnt lgkmcnt(0)
	s_barrier
	buffer_gl0_inv
	s_and_b32 exec_lo, exec_lo, vcc_lo
	s_cbranch_execz .LBB0_15
; %bb.14:
	s_clause 0x5
	global_load_dword v7, v25, s[20:21]
	global_load_dword v11, v25, s[20:21] offset:196
	global_load_dword v12, v25, s[20:21] offset:392
	;; [unrolled: 1-line block ×5, first 2 shown]
	v_mad_u64_u32 v[14:15], null, s6, v8, 0
	v_mad_u64_u32 v[16:17], null, s4, v26, 0
	ds_read_b32 v28, v25
	ds_read2_b32 v[18:19], v25 offset0:49 offset1:98
	ds_read2_b32 v[20:21], v25 offset0:147 offset1:196
	s_mov_b32 s22, 0xf5262dd1
	v_mov_b32_e32 v0, v15
	s_mov_b32 s23, 0x3f59b876
	v_mov_b32_e32 v4, v17
	v_add_co_u32 v2, s0, s20, v25
	v_mad_u64_u32 v[22:23], null, s7, v8, v[0:1]
	global_load_dword v8, v25, s[20:21] offset:1176
	v_mad_u64_u32 v[23:24], null, s5, v26, v[4:5]
	ds_read2_b32 v[0:1], v10 offset0:117 offset1:166
	v_add_co_ci_u32_e64 v3, null, s21, 0, s0
	v_mov_b32_e32 v15, v22
	s_mul_i32 s0, s5, 0xc4
	s_mul_hi_u32 s24, s4, 0xc4
	v_mov_b32_e32 v17, v23
	s_waitcnt lgkmcnt(3)
	v_lshrrev_b32_e32 v10, 16, v28
	v_lshlrev_b64 v[14:15], 2, v[14:15]
	s_waitcnt lgkmcnt(2)
	v_lshrrev_b32_e32 v22, 16, v18
	v_lshrrev_b32_e32 v23, 16, v19
	v_lshlrev_b64 v[16:17], 2, v[16:17]
	s_waitcnt lgkmcnt(1)
	v_lshrrev_b32_e32 v24, 16, v20
	v_lshrrev_b32_e32 v26, 16, v21
	v_add_co_u32 v14, vcc_lo, s8, v14
	v_add_co_ci_u32_e32 v15, vcc_lo, s9, v15, vcc_lo
	s_mul_i32 s19, s4, 0xc4
	v_add_co_u32 v14, vcc_lo, v14, v16
	v_add_co_ci_u32_e32 v15, vcc_lo, v15, v17, vcc_lo
	s_waitcnt lgkmcnt(0)
	v_lshrrev_b32_e32 v37, 16, v0
	s_add_i32 s24, s24, s0
	s_clause 0x2
	global_load_dword v4, v25, s[20:21] offset:1372
	global_load_dword v5, v25, s[20:21] offset:1568
	;; [unrolled: 1-line block ×3, first 2 shown]
	s_waitcnt vmcnt(9)
	v_mul_f16_sdwa v16, v10, v7 dst_sel:DWORD dst_unused:UNUSED_PAD src0_sel:DWORD src1_sel:WORD_1
	v_mul_f16_sdwa v17, v28, v7 dst_sel:DWORD dst_unused:UNUSED_PAD src0_sel:DWORD src1_sel:WORD_1
	s_waitcnt vmcnt(8)
	v_mul_f16_sdwa v29, v22, v11 dst_sel:DWORD dst_unused:UNUSED_PAD src0_sel:DWORD src1_sel:WORD_1
	v_mul_f16_sdwa v30, v18, v11 dst_sel:DWORD dst_unused:UNUSED_PAD src0_sel:DWORD src1_sel:WORD_1
	s_waitcnt vmcnt(7)
	v_mul_f16_sdwa v31, v23, v12 dst_sel:DWORD dst_unused:UNUSED_PAD src0_sel:DWORD src1_sel:WORD_1
	v_fmac_f16_e32 v16, v28, v7
	v_fma_f16 v7, v7, v10, -v17
	v_mul_f16_sdwa v32, v19, v12 dst_sel:DWORD dst_unused:UNUSED_PAD src0_sel:DWORD src1_sel:WORD_1
	s_waitcnt vmcnt(6)
	v_mul_f16_sdwa v33, v24, v13 dst_sel:DWORD dst_unused:UNUSED_PAD src0_sel:DWORD src1_sel:WORD_1
	v_mul_f16_sdwa v34, v20, v13 dst_sel:DWORD dst_unused:UNUSED_PAD src0_sel:DWORD src1_sel:WORD_1
	v_cvt_f32_f16_e32 v10, v16
	v_fmac_f16_e32 v29, v18, v11
	v_fma_f16 v17, v11, v22, -v30
	v_cvt_f32_f16_e32 v7, v7
	v_fmac_f16_e32 v31, v19, v12
	v_cvt_f64_f32_e32 v[10:11], v10
	v_fma_f16 v18, v12, v23, -v32
	v_fmac_f16_e32 v33, v20, v13
	v_fma_f16 v20, v13, v24, -v34
	v_cvt_f64_f32_e32 v[12:13], v7
	v_cvt_f32_f16_e32 v7, v29
	s_waitcnt vmcnt(5)
	v_mul_f16_sdwa v35, v26, v27 dst_sel:DWORD dst_unused:UNUSED_PAD src0_sel:DWORD src1_sel:WORD_1
	v_mul_f16_sdwa v38, v21, v27 dst_sel:DWORD dst_unused:UNUSED_PAD src0_sel:DWORD src1_sel:WORD_1
	s_waitcnt vmcnt(4)
	v_mul_f16_sdwa v39, v37, v36 dst_sel:DWORD dst_unused:UNUSED_PAD src0_sel:DWORD src1_sel:WORD_1
	v_cvt_f32_f16_e32 v19, v17
	v_cvt_f64_f32_e32 v[16:17], v7
	v_mul_f16_sdwa v40, v0, v36 dst_sel:DWORD dst_unused:UNUSED_PAD src0_sel:DWORD src1_sel:WORD_1
	v_fmac_f16_e32 v35, v21, v27
	v_fma_f16 v21, v27, v26, -v38
	v_fmac_f16_e32 v39, v0, v36
	v_cvt_f32_f16_e32 v0, v31
	v_cvt_f32_f16_e32 v22, v18
	v_cvt_f64_f32_e32 v[18:19], v19
	v_cvt_f32_f16_e32 v24, v20
	v_cvt_f32_f16_e32 v32, v21
	v_cvt_f64_f32_e32 v[20:21], v0
	v_cvt_f32_f16_e32 v7, v33
	v_mul_f64 v[10:11], v[10:11], s[22:23]
	v_cvt_f64_f32_e32 v[22:23], v22
	v_fma_f16 v0, v36, v37, -v40
	v_cvt_f32_f16_e32 v30, v35
	v_mul_f64 v[12:13], v[12:13], s[22:23]
	v_cvt_f64_f32_e32 v[26:27], v7
	v_cvt_f64_f32_e32 v[28:29], v24
	v_cvt_f32_f16_e32 v0, v0
	v_cvt_f64_f32_e32 v[30:31], v30
	v_add_co_u32 v36, vcc_lo, v14, s19
	v_mul_f64 v[16:17], v[16:17], s[22:23]
	v_add_co_ci_u32_e32 v37, vcc_lo, s24, v15, vcc_lo
	v_cvt_f64_f32_e32 v[40:41], v0
	v_cvt_f32_f16_e32 v34, v39
	v_cvt_f64_f32_e32 v[32:33], v32
	v_mul_f64 v[18:19], v[18:19], s[22:23]
	v_add_co_u32 v38, vcc_lo, v36, s19
	v_mul_f64 v[20:21], v[20:21], s[22:23]
	v_add_co_ci_u32_e32 v39, vcc_lo, s24, v37, vcc_lo
	v_and_or_b32 v0, 0x1ff, v11, v10
	v_mul_f64 v[22:23], v[22:23], s[22:23]
	v_cvt_f64_f32_e32 v[34:35], v34
	v_and_or_b32 v12, 0x1ff, v13, v12
	v_mul_f64 v[26:27], v[26:27], s[22:23]
	v_cmp_ne_u32_e32 vcc_lo, 0, v0
	v_mul_f64 v[28:29], v[28:29], s[22:23]
	v_mul_f64 v[30:31], v[30:31], s[22:23]
	v_lshrrev_b32_e32 v7, 8, v11
	v_bfe_u32 v10, v11, 20, 11
	v_and_or_b32 v16, 0x1ff, v17, v16
	v_cndmask_b32_e64 v0, 0, 1, vcc_lo
	v_cmp_ne_u32_e32 vcc_lo, 0, v12
	v_lshrrev_b32_e32 v24, 8, v13
	v_bfe_u32 v42, v13, 20, 11
	v_mul_f64 v[32:33], v[32:33], s[22:23]
	v_and_or_b32 v18, 0x1ff, v19, v18
	v_cndmask_b32_e64 v12, 0, 1, vcc_lo
	v_cmp_ne_u32_e32 vcc_lo, 0, v16
	v_and_or_b32 v20, 0x1ff, v21, v20
	v_and_or_b32 v0, 0xffe, v7, v0
	v_lshrrev_b32_e32 v43, 8, v17
	v_bfe_u32 v44, v17, 20, 11
	v_cndmask_b32_e64 v16, 0, 1, vcc_lo
	v_cmp_ne_u32_e32 vcc_lo, 0, v18
	v_and_or_b32 v22, 0x1ff, v23, v22
	v_mul_f64 v[34:35], v[34:35], s[22:23]
	v_and_or_b32 v26, 0x1ff, v27, v26
	v_and_or_b32 v28, 0x1ff, v29, v28
	v_cndmask_b32_e64 v18, 0, 1, vcc_lo
	v_cmp_ne_u32_e32 vcc_lo, 0, v20
	v_and_or_b32 v30, 0x1ff, v31, v30
	v_sub_nc_u32_e32 v61, 0x3f1, v10
	v_add_nc_u32_e32 v10, 0xfffffc10, v10
	v_and_or_b32 v12, 0xffe, v24, v12
	v_cndmask_b32_e64 v20, 0, 1, vcc_lo
	v_cmp_ne_u32_e32 vcc_lo, 0, v22
	v_and_or_b32 v32, 0x1ff, v33, v32
	v_lshrrev_b32_e32 v45, 8, v19
	v_bfe_u32 v46, v19, 20, 11
	v_bfe_u32 v48, v21, 20, 11
	v_cndmask_b32_e64 v22, 0, 1, vcc_lo
	v_cmp_ne_u32_e32 vcc_lo, 0, v26
	v_sub_nc_u32_e32 v62, 0x3f1, v42
	v_add_nc_u32_e32 v42, 0xfffffc10, v42
	v_sub_nc_u32_e32 v63, 0x3f1, v44
	v_med3_i32 v7, v61, 0, 13
	v_cndmask_b32_e64 v26, 0, 1, vcc_lo
	v_cmp_ne_u32_e32 vcc_lo, 0, v28
	v_and_or_b32 v34, 0x1ff, v35, v34
	v_lshrrev_b32_e32 v59, 8, v35
	v_and_or_b32 v16, 0xffe, v43, v16
	v_lshl_or_b32 v61, v10, 12, v0
	v_cndmask_b32_e64 v28, 0, 1, vcc_lo
	v_cmp_ne_u32_e32 vcc_lo, 0, v30
	v_lshrrev_b32_e32 v47, 8, v21
	v_bfe_u32 v50, v23, 20, 11
	v_bfe_u32 v52, v27, 20, 11
	v_add_nc_u32_e32 v44, 0xfffffc10, v44
	v_cndmask_b32_e64 v30, 0, 1, vcc_lo
	v_cmp_ne_u32_e32 vcc_lo, 0, v32
	v_sub_nc_u32_e32 v64, 0x3f1, v46
	v_sub_nc_u32_e32 v65, 0x3f1, v48
	v_med3_i32 v24, v62, 0, 13
	v_med3_i32 v43, v63, 0, 13
	v_cndmask_b32_e64 v32, 0, 1, vcc_lo
	v_cmp_ne_u32_e32 vcc_lo, 0, v34
	v_and_or_b32 v18, 0xffe, v45, v18
	v_or_b32_e32 v62, 0x1000, v12
	v_lshl_or_b32 v63, v42, 12, v12
	v_lshrrev_b32_e32 v49, 8, v23
	v_cndmask_b32_e64 v34, 0, 1, vcc_lo
	v_cmp_ne_u32_e32 vcc_lo, 0, v0
	v_lshrrev_b32_e32 v51, 8, v27
	v_bfe_u32 v54, v29, 20, 11
	v_bfe_u32 v56, v31, 20, 11
	v_and_or_b32 v34, 0xffe, v59, v34
	v_or_b32_e32 v59, 0x1000, v0
	v_cndmask_b32_e64 v0, 0, 1, vcc_lo
	v_cmp_ne_u32_e32 vcc_lo, 0, v12
	v_add_nc_u32_e32 v46, 0xfffffc10, v46
	v_sub_nc_u32_e32 v66, 0x3f1, v50
	v_sub_nc_u32_e32 v67, 0x3f1, v52
	v_med3_i32 v45, v64, 0, 13
	v_cndmask_b32_e64 v12, 0, 1, vcc_lo
	v_cmp_ne_u32_e32 vcc_lo, 0, v16
	v_and_or_b32 v20, 0xffe, v47, v20
	v_med3_i32 v47, v65, 0, 13
	v_or_b32_e32 v64, 0x1000, v16
	v_lshl_or_b32 v65, v44, 12, v16
	v_cndmask_b32_e64 v16, 0, 1, vcc_lo
	v_cmp_ne_u32_e32 vcc_lo, 0, v18
	v_lshrrev_b32_e32 v53, 8, v29
	v_lshrrev_b32_e32 v55, 8, v31
	v_bfe_u32 v58, v33, 20, 11
	v_add_nc_u32_e32 v48, 0xfffffc10, v48
	v_sub_nc_u32_e32 v68, 0x3f1, v54
	v_sub_nc_u32_e32 v69, 0x3f1, v56
	v_and_or_b32 v22, 0xffe, v49, v22
	v_med3_i32 v49, v66, 0, 13
	v_and_or_b32 v26, 0xffe, v51, v26
	v_med3_i32 v51, v67, 0, 13
	v_or_b32_e32 v66, 0x1000, v18
	v_lshl_or_b32 v67, v46, 12, v18
	v_cndmask_b32_e64 v18, 0, 1, vcc_lo
	v_cmp_ne_u32_e32 vcc_lo, 0, v20
	v_lshrrev_b32_e32 v57, 8, v33
	v_add_nc_u32_e32 v50, 0xfffffc10, v50
	v_sub_nc_u32_e32 v70, 0x3f1, v58
	v_and_or_b32 v28, 0xffe, v53, v28
	v_med3_i32 v53, v68, 0, 13
	v_and_or_b32 v30, 0xffe, v55, v30
	v_med3_i32 v55, v69, 0, 13
	v_or_b32_e32 v68, 0x1000, v20
	v_lshl_or_b32 v69, v48, 12, v20
	v_cndmask_b32_e64 v20, 0, 1, vcc_lo
	v_cmp_ne_u32_e32 vcc_lo, 0, v22
	v_add_nc_u32_e32 v52, 0xfffffc10, v52
	v_and_or_b32 v32, 0xffe, v57, v32
	v_med3_i32 v57, v70, 0, 13
	v_or_b32_e32 v70, 0x1000, v22
	v_lshl_or_b32 v72, v50, 12, v22
	v_cndmask_b32_e64 v22, 0, 1, vcc_lo
	v_cmp_ne_u32_e32 vcc_lo, 0, v26
	v_add_nc_u32_e32 v54, 0xfffffc10, v54
	v_or_b32_e32 v73, 0x1000, v26
	v_lshl_or_b32 v74, v52, 12, v26
	v_add_nc_u32_e32 v56, 0xfffffc10, v56
	v_cndmask_b32_e64 v26, 0, 1, vcc_lo
	v_cmp_ne_u32_e32 vcc_lo, 0, v28
	v_or_b32_e32 v75, 0x1000, v28
	v_lshl_or_b32 v76, v54, 12, v28
	v_lshrrev_b32_e32 v81, v7, v59
	v_add_nc_u32_e32 v58, 0xfffffc10, v58
	v_cndmask_b32_e64 v28, 0, 1, vcc_lo
	v_cmp_ne_u32_e32 vcc_lo, 0, v30
	v_or_b32_e32 v77, 0x1000, v30
	v_lshl_or_b32 v78, v56, 12, v30
	v_lshrrev_b32_e32 v82, v24, v62
	v_lshlrev_b32_e32 v7, v7, v81
	v_cndmask_b32_e64 v30, 0, 1, vcc_lo
	v_cmp_ne_u32_e32 vcc_lo, 0, v32
	v_or_b32_e32 v79, 0x1000, v32
	v_lshl_or_b32 v80, v58, 12, v32
	v_lshrrev_b32_e32 v83, v43, v64
	v_lshlrev_b32_e32 v24, v24, v82
	v_cndmask_b32_e64 v32, 0, 1, vcc_lo
	v_cmp_ne_u32_e32 vcc_lo, v7, v59
	v_lshrrev_b32_e32 v84, v45, v66
	v_lshlrev_b32_e32 v43, v43, v83
	v_lshrrev_b32_e32 v85, v47, v68
	v_lshrrev_b32_e32 v86, v49, v70
	v_cndmask_b32_e64 v7, 0, 1, vcc_lo
	v_cmp_ne_u32_e32 vcc_lo, v24, v62
	v_lshlrev_b32_e32 v45, v45, v84
	v_lshlrev_b32_e32 v47, v47, v85
	v_lshrrev_b32_e32 v87, v51, v73
	v_lshlrev_b32_e32 v49, v49, v86
	v_cndmask_b32_e64 v24, 0, 1, vcc_lo
	v_cmp_ne_u32_e32 vcc_lo, v43, v64
	v_lshrrev_b32_e32 v88, v53, v75
	v_lshlrev_b32_e32 v51, v51, v87
	v_lshrrev_b32_e32 v89, v55, v77
	v_lshrrev_b32_e32 v90, v57, v79
	v_cndmask_b32_e64 v43, 0, 1, vcc_lo
	v_cmp_ne_u32_e32 vcc_lo, v45, v66
	v_lshlrev_b32_e32 v53, v53, v88
	v_lshlrev_b32_e32 v55, v55, v89
	;; [unrolled: 1-line block ×3, first 2 shown]
	v_or_b32_e32 v7, v81, v7
	v_cndmask_b32_e64 v45, 0, 1, vcc_lo
	v_cmp_ne_u32_e32 vcc_lo, v47, v68
	v_or_b32_e32 v24, v82, v24
	v_or_b32_e32 v43, v83, v43
	v_lshl_or_b32 v0, v0, 9, 0x7c00
	v_or_b32_e32 v45, v84, v45
	v_cndmask_b32_e64 v47, 0, 1, vcc_lo
	v_cmp_ne_u32_e32 vcc_lo, v49, v70
	v_lshl_or_b32 v12, v12, 9, 0x7c00
	v_lshl_or_b32 v16, v16, 9, 0x7c00
	;; [unrolled: 1-line block ×3, first 2 shown]
	v_or_b32_e32 v47, v85, v47
	v_cndmask_b32_e64 v49, 0, 1, vcc_lo
	v_cmp_ne_u32_e32 vcc_lo, v51, v73
	v_lshl_or_b32 v20, v20, 9, 0x7c00
	v_lshrrev_b32_e32 v11, 16, v11
	v_lshrrev_b32_e32 v17, 16, v17
	v_or_b32_e32 v49, v86, v49
	v_cndmask_b32_e64 v51, 0, 1, vcc_lo
	v_cmp_ne_u32_e32 vcc_lo, v53, v75
	v_lshrrev_b32_e32 v21, 16, v21
	v_lshl_or_b32 v22, v22, 9, 0x7c00
	v_lshrrev_b32_e32 v13, 16, v13
	v_or_b32_e32 v51, v87, v51
	v_cndmask_b32_e64 v53, 0, 1, vcc_lo
	v_cmp_ne_u32_e32 vcc_lo, v55, v77
	v_lshrrev_b32_e32 v19, 16, v19
	v_lshrrev_b32_e32 v23, 16, v23
	v_lshl_or_b32 v26, v26, 9, 0x7c00
	v_or_b32_e32 v53, v88, v53
	v_cndmask_b32_e64 v55, 0, 1, vcc_lo
	v_cmp_ne_u32_e32 vcc_lo, v57, v79
	v_bfe_u32 v60, v35, 20, 11
	v_lshl_or_b32 v28, v28, 9, 0x7c00
	v_lshrrev_b32_e32 v27, 16, v27
	v_or_b32_e32 v55, v89, v55
	v_cndmask_b32_e64 v57, 0, 1, vcc_lo
	v_cmp_gt_i32_e32 vcc_lo, 1, v10
	v_sub_nc_u32_e32 v71, 0x3f1, v60
	v_lshrrev_b32_e32 v29, 16, v29
	v_lshl_or_b32 v30, v30, 9, 0x7c00
	v_or_b32_e32 v57, v90, v57
	v_cndmask_b32_e32 v7, v61, v7, vcc_lo
	v_cmp_gt_i32_e32 vcc_lo, 1, v42
	v_and_b32_e32 v59, 7, v7
	v_cndmask_b32_e32 v24, v63, v24, vcc_lo
	v_cmp_gt_i32_e32 vcc_lo, 1, v44
	v_lshrrev_b32_e32 v7, 2, v7
	v_cmp_eq_u32_e64 s0, 3, v59
	v_and_b32_e32 v61, 7, v24
	v_cndmask_b32_e32 v43, v65, v43, vcc_lo
	v_cmp_gt_i32_e32 vcc_lo, 1, v46
	v_lshrrev_b32_e32 v24, 2, v24
	v_cmp_lt_i32_e64 s1, 5, v61
	v_and_b32_e32 v62, 7, v43
	v_cndmask_b32_e32 v45, v67, v45, vcc_lo
	v_cmp_gt_i32_e32 vcc_lo, 1, v48
	v_cmp_eq_u32_e64 s2, 3, v61
	v_lshrrev_b32_e32 v43, 2, v43
	v_cmp_lt_i32_e64 s3, 5, v62
	v_and_b32_e32 v63, 7, v45
	v_cndmask_b32_e32 v47, v69, v47, vcc_lo
	v_cmp_gt_i32_e32 vcc_lo, 1, v50
	v_cmp_eq_u32_e64 s4, 3, v62
	;; [unrolled: 6-line block ×6, first 2 shown]
	v_lshrrev_b32_e32 v53, 2, v53
	v_cmp_lt_i32_e64 s13, 5, v67
	v_and_b32_e32 v68, 7, v55
	v_cndmask_b32_e32 v57, v80, v57, vcc_lo
	v_cmp_lt_i32_e32 vcc_lo, 5, v59
	v_cmp_eq_u32_e64 s14, 3, v67
	v_lshrrev_b32_e32 v55, 2, v55
	v_cmp_lt_i32_e64 s15, 5, v68
	v_and_b32_e32 v69, 7, v57
	s_or_b32 vcc_lo, s0, vcc_lo
	v_cmp_eq_u32_e64 s16, 3, v68
	v_add_co_ci_u32_e32 v7, vcc_lo, 0, v7, vcc_lo
	s_or_b32 vcc_lo, s2, s1
	v_cmp_lt_i32_e64 s17, 5, v69
	v_add_co_ci_u32_e32 v24, vcc_lo, 0, v24, vcc_lo
	s_or_b32 vcc_lo, s4, s3
	v_cmp_eq_u32_e64 s18, 3, v69
	v_add_co_ci_u32_e32 v43, vcc_lo, 0, v43, vcc_lo
	s_or_b32 vcc_lo, s6, s5
	v_lshrrev_b32_e32 v57, 2, v57
	v_add_co_ci_u32_e32 v45, vcc_lo, 0, v45, vcc_lo
	s_or_b32 vcc_lo, s8, s7
	v_add_co_ci_u32_e32 v47, vcc_lo, 0, v47, vcc_lo
	s_or_b32 vcc_lo, s10, s9
	;; [unrolled: 2-line block ×6, first 2 shown]
	v_add_co_ci_u32_e32 v57, vcc_lo, 0, v57, vcc_lo
	v_cmp_gt_i32_e32 vcc_lo, 31, v10
	v_cndmask_b32_e32 v7, 0x7c00, v7, vcc_lo
	v_cmp_gt_i32_e32 vcc_lo, 31, v42
	v_cndmask_b32_e32 v24, 0x7c00, v24, vcc_lo
	;; [unrolled: 2-line block ×9, first 2 shown]
	v_cmp_eq_u32_e32 vcc_lo, 0x40f, v10
	v_cndmask_b32_e32 v0, v7, v0, vcc_lo
	v_cmp_eq_u32_e32 vcc_lo, 0x40f, v42
	v_and_or_b32 v0, 0x8000, v11, v0
	v_cndmask_b32_e32 v7, v24, v12, vcc_lo
	v_cmp_eq_u32_e32 vcc_lo, 0x40f, v44
	v_and_b32_e32 v0, 0xffff, v0
	v_and_or_b32 v7, 0x8000, v13, v7
	v_cndmask_b32_e32 v10, v43, v16, vcc_lo
	v_cmp_eq_u32_e32 vcc_lo, 0x40f, v46
	v_lshl_or_b32 v0, v7, 16, v0
	v_and_or_b32 v10, 0x8000, v17, v10
	v_cndmask_b32_e32 v12, v45, v18, vcc_lo
	v_cmp_eq_u32_e32 vcc_lo, 0x40f, v48
	v_and_b32_e32 v10, 0xffff, v10
	v_and_or_b32 v12, 0x8000, v19, v12
	v_cndmask_b32_e32 v16, v47, v20, vcc_lo
	v_cmp_eq_u32_e32 vcc_lo, 0x40f, v50
	v_lshl_or_b32 v7, v12, 16, v10
	v_and_or_b32 v11, 0x8000, v21, v16
	v_cndmask_b32_e32 v18, v49, v22, vcc_lo
	v_cmp_eq_u32_e32 vcc_lo, 0x40f, v52
	v_and_b32_e32 v11, 0xffff, v11
	v_and_or_b32 v13, 0x8000, v23, v18
	v_cndmask_b32_e32 v20, v51, v26, vcc_lo
	v_cmp_eq_u32_e32 vcc_lo, 0x40f, v54
	v_lshrrev_b32_e32 v18, 16, v31
	v_lshl_or_b32 v10, v13, 16, v11
	global_store_dword v[14:15], v0, off
	global_store_dword v[36:37], v7, off
	;; [unrolled: 1-line block ×3, first 2 shown]
	v_mul_f64 v[10:11], v[40:41], s[22:23]
	v_cndmask_b32_e32 v16, v53, v28, vcc_lo
	v_cmp_gt_i32_e32 vcc_lo, 31, v58
	v_and_or_b32 v17, 0x8000, v27, v20
	v_or_b32_e32 v0, 0x1000, v34
	v_med3_i32 v7, v71, 0, 13
	v_and_or_b32 v12, 0x8000, v29, v16
	v_cndmask_b32_e32 v14, 0x7c00, v57, vcc_lo
	v_cmp_eq_u32_e32 vcc_lo, 0x40f, v56
	v_and_b32_e32 v13, 0xffff, v17
	v_lshrrev_b32_e32 v17, v7, v0
	v_lshl_or_b32 v15, v32, 9, 0x7c00
	v_add_nc_u32_e32 v20, 0xfffffc10, v60
	v_cndmask_b32_e32 v16, v55, v30, vcc_lo
	v_cmp_eq_u32_e32 vcc_lo, 0x40f, v58
	v_lshlrev_b32_e32 v7, v7, v17
	v_lshl_or_b32 v19, v12, 16, v13
	global_load_dword v22, v25, s[20:21] offset:1960
	v_and_or_b32 v12, 0x8000, v18, v16
	v_lshrrev_b32_e32 v16, 16, v1
	v_cndmask_b32_e32 v14, v14, v15, vcc_lo
	v_cmp_ne_u32_e32 vcc_lo, v7, v0
	v_and_or_b32 v10, 0x1ff, v11, v10
	v_lshrrev_b32_e32 v15, 16, v33
	s_waitcnt vmcnt(4)
	v_mul_f16_sdwa v7, v16, v8 dst_sel:DWORD dst_unused:UNUSED_PAD src0_sel:DWORD src1_sel:WORD_1
	v_and_b32_e32 v21, 0xffff, v12
	v_cndmask_b32_e64 v0, 0, 1, vcc_lo
	v_cmp_ne_u32_e32 vcc_lo, 0, v10
	v_lshl_or_b32 v12, v20, 12, v34
	v_fmac_f16_e32 v7, v1, v8
	v_lshrrev_b32_e32 v13, 8, v11
	v_or_b32_e32 v0, v17, v0
	v_cndmask_b32_e64 v10, 0, 1, vcc_lo
	v_bfe_u32 v17, v11, 20, 11
	v_cvt_f32_f16_e32 v7, v7
	v_cmp_gt_i32_e32 vcc_lo, 1, v20
	v_and_or_b32 v18, 0x8000, v15, v14
	v_and_or_b32 v10, 0xffe, v13, v10
	v_sub_nc_u32_e32 v14, 0x3f1, v17
	v_mul_f16_sdwa v1, v1, v8 dst_sel:DWORD dst_unused:UNUSED_PAD src0_sel:DWORD src1_sel:WORD_1
	v_cndmask_b32_e32 v0, v12, v0, vcc_lo
	v_cvt_f64_f32_e32 v[12:13], v7
	v_or_b32_e32 v23, 0x1000, v10
	v_med3_i32 v24, v14, 0, 13
	v_add_co_u32 v14, vcc_lo, v38, s19
	v_and_b32_e32 v7, 7, v0
	v_add_co_ci_u32_e32 v15, vcc_lo, s24, v39, vcc_lo
	v_lshrrev_b32_e32 v26, v24, v23
	v_lshrrev_b32_e32 v0, 2, v0
	v_cmp_lt_i32_e32 vcc_lo, 5, v7
	v_cmp_eq_u32_e64 s0, 3, v7
	v_fma_f16 v1, v8, v16, -v1
	v_lshlrev_b32_e32 v7, v24, v26
	v_lshl_or_b32 v18, v18, 16, v21
	v_lshrrev_b32_e32 v11, 16, v11
	s_or_b32 vcc_lo, s0, vcc_lo
	v_cvt_f32_f16_e32 v1, v1
	v_add_co_ci_u32_e32 v0, vcc_lo, 0, v0, vcc_lo
	v_cmp_ne_u32_e32 vcc_lo, v7, v23
	v_add_nc_u32_e32 v23, 0xfffffc10, v17
	v_mul_f64 v[7:8], v[12:13], s[22:23]
	v_cndmask_b32_e64 v21, 0, 1, vcc_lo
	v_cmp_ne_u32_e32 vcc_lo, 0, v34
	v_lshl_or_b32 v16, v23, 12, v10
	v_or_b32_e32 v13, v26, v21
	v_cndmask_b32_e64 v12, 0, 1, vcc_lo
	v_cmp_gt_i32_e32 vcc_lo, 31, v20
	v_lshl_or_b32 v24, v12, 9, 0x7c00
	v_cndmask_b32_e32 v21, 0x7c00, v0, vcc_lo
	v_cvt_f64_f32_e32 v[0:1], v1
	v_cmp_gt_i32_e32 vcc_lo, 1, v23
	v_cndmask_b32_e32 v26, v16, v13, vcc_lo
	ds_read2_b32 v[12:13], v9 offset0:87 offset1:136
	v_add_co_u32 v16, vcc_lo, v14, s19
	v_add_co_ci_u32_e32 v17, vcc_lo, s24, v15, vcc_lo
	v_cmp_eq_u32_e32 vcc_lo, 0x40f, v20
	v_and_or_b32 v7, 0x1ff, v8, v7
	global_store_dword v[14:15], v19, off
	global_store_dword v[16:17], v18, off
	v_lshrrev_b32_e32 v19, 2, v26
	v_cndmask_b32_e32 v20, v21, v24, vcc_lo
	v_and_b32_e32 v24, 7, v26
	v_lshrrev_b32_e32 v21, 16, v35
	v_cmp_ne_u32_e64 s1, 0, v7
	v_mul_f64 v[14:15], v[0:1], s[22:23]
	v_cmp_lt_i32_e32 vcc_lo, 5, v24
	v_cmp_eq_u32_e64 s0, 3, v24
	v_and_or_b32 v18, 0x8000, v21, v20
	v_cndmask_b32_e64 v7, 0, 1, s1
	v_lshrrev_b32_e32 v20, 8, v8
	v_bfe_u32 v21, v8, 20, 11
	s_or_b32 vcc_lo, s0, vcc_lo
	s_waitcnt lgkmcnt(0)
	v_lshrrev_b32_e32 v24, 16, v12
	v_add_co_ci_u32_e32 v0, vcc_lo, 0, v19, vcc_lo
	v_and_or_b32 v7, 0xffe, v20, v7
	v_sub_nc_u32_e32 v1, 0x3f1, v21
	v_cmp_ne_u32_e32 vcc_lo, 0, v10
	s_waitcnt vmcnt(3)
	v_mul_f16_sdwa v19, v24, v4 dst_sel:DWORD dst_unused:UNUSED_PAD src0_sel:DWORD src1_sel:WORD_1
	v_add_nc_u32_e32 v21, 0xfffffc10, v21
	v_or_b32_e32 v20, 0x1000, v7
	v_med3_i32 v26, v1, 0, 13
	v_cndmask_b32_e64 v10, 0, 1, vcc_lo
	v_cmp_gt_i32_e32 vcc_lo, 31, v23
	v_fmac_f16_e32 v19, v12, v4
	v_and_b32_e32 v18, 0xffff, v18
	v_lshrrev_b32_e32 v28, v26, v20
	v_lshl_or_b32 v10, v10, 9, 0x7c00
	v_cndmask_b32_e32 v27, 0x7c00, v0, vcc_lo
	v_add_co_u32 v0, vcc_lo, 0x800, v2
	v_add_co_ci_u32_e32 v1, vcc_lo, 0, v3, vcc_lo
	v_cmp_eq_u32_e32 vcc_lo, 0x40f, v23
	v_lshlrev_b32_e32 v23, v26, v28
	v_cvt_f32_f16_e32 v19, v19
	v_and_or_b32 v14, 0x1ff, v15, v14
	v_bfe_u32 v26, v15, 20, 11
	v_cndmask_b32_e32 v10, v27, v10, vcc_lo
	v_cmp_ne_u32_e32 vcc_lo, v23, v20
	v_cvt_f64_f32_e32 v[2:3], v19
	v_lshrrev_b32_e32 v23, 8, v15
	global_load_dword v19, v[0:1], off offset:108
	v_and_or_b32 v10, 0x8000, v11, v10
	v_cndmask_b32_e64 v20, 0, 1, vcc_lo
	v_cmp_ne_u32_e32 vcc_lo, 0, v14
	v_lshrrev_b32_e32 v8, 16, v8
	v_lshrrev_b32_e32 v15, 16, v15
	v_or_b32_e32 v11, v28, v20
	v_cndmask_b32_e64 v14, 0, 1, vcc_lo
	v_lshl_or_b32 v20, v21, 12, v7
	v_cmp_gt_i32_e32 vcc_lo, 1, v21
	v_and_or_b32 v14, 0xffe, v23, v14
	v_sub_nc_u32_e32 v23, 0x3f1, v26
	v_cndmask_b32_e32 v20, v20, v11, vcc_lo
	v_mul_f16_sdwa v11, v12, v4 dst_sel:DWORD dst_unused:UNUSED_PAD src0_sel:DWORD src1_sel:WORD_1
	v_lshl_or_b32 v12, v10, 16, v18
	v_or_b32_e32 v27, 0x1000, v14
	v_med3_i32 v23, v23, 0, 13
	v_mul_f64 v[2:3], v[2:3], s[22:23]
	v_and_b32_e32 v18, 7, v20
	v_add_co_u32 v10, vcc_lo, v16, s19
	v_lshrrev_b32_e32 v28, v23, v27
	v_fma_f16 v4, v4, v24, -v11
	v_add_co_ci_u32_e32 v11, vcc_lo, s24, v17, vcc_lo
	v_cmp_lt_i32_e32 vcc_lo, 5, v18
	v_lshlrev_b32_e32 v16, v23, v28
	v_cmp_eq_u32_e64 s0, 3, v18
	v_lshrrev_b32_e32 v18, 2, v20
	v_cvt_f32_f16_e32 v4, v4
	global_store_dword v[10:11], v12, off
	v_cmp_ne_u32_e64 s1, v16, v27
	s_or_b32 vcc_lo, s0, vcc_lo
	v_add_co_ci_u32_e32 v18, vcc_lo, 0, v18, vcc_lo
	v_cndmask_b32_e64 v20, 0, 1, s1
	v_cvt_f64_f32_e32 v[16:17], v4
	v_add_nc_u32_e32 v4, 0xfffffc10, v26
	v_cmp_ne_u32_e32 vcc_lo, 0, v7
	v_and_or_b32 v2, 0x1ff, v3, v2
	v_or_b32_e32 v20, v28, v20
	v_bfe_u32 v24, v3, 20, 11
	v_lshl_or_b32 v23, v4, 12, v14
	v_cndmask_b32_e64 v7, 0, 1, vcc_lo
	v_cmp_gt_i32_e32 vcc_lo, 1, v4
	v_lshl_or_b32 v7, v7, 9, 0x7c00
	v_cndmask_b32_e32 v20, v23, v20, vcc_lo
	v_cmp_ne_u32_e32 vcc_lo, 0, v2
	v_lshrrev_b32_e32 v23, 8, v3
	v_and_b32_e32 v26, 7, v20
	v_cndmask_b32_e64 v2, 0, 1, vcc_lo
	v_cmp_gt_i32_e32 vcc_lo, 31, v21
	v_mul_f64 v[16:17], v[16:17], s[22:23]
	v_cmp_eq_u32_e64 s0, 3, v26
	v_and_or_b32 v2, 0xffe, v23, v2
	v_cndmask_b32_e32 v18, 0x7c00, v18, vcc_lo
	v_cmp_eq_u32_e32 vcc_lo, 0x40f, v21
	v_sub_nc_u32_e32 v23, 0x3f1, v24
	v_cndmask_b32_e32 v7, v18, v7, vcc_lo
	v_cmp_lt_i32_e32 vcc_lo, 5, v26
	v_med3_i32 v21, v23, 0, 13
	v_or_b32_e32 v18, 0x1000, v2
	v_lshrrev_b32_e32 v26, 16, v13
	v_and_or_b32 v23, 0x8000, v8, v7
	v_lshrrev_b32_e32 v7, 2, v20
	s_or_b32 vcc_lo, s0, vcc_lo
	v_lshrrev_b32_e32 v20, v21, v18
	v_add_co_ci_u32_e32 v7, vcc_lo, 0, v7, vcc_lo
	v_cmp_ne_u32_e32 vcc_lo, 0, v14
	v_lshlrev_b32_e32 v21, v21, v20
	s_waitcnt vmcnt(3)
	v_mul_f16_sdwa v14, v26, v5 dst_sel:DWORD dst_unused:UNUSED_PAD src0_sel:DWORD src1_sel:WORD_1
	v_cndmask_b32_e64 v8, 0, 1, vcc_lo
	v_cmp_gt_i32_e32 vcc_lo, 31, v4
	v_fmac_f16_e32 v14, v13, v5
	v_mul_f16_sdwa v13, v13, v5 dst_sel:DWORD dst_unused:UNUSED_PAD src0_sel:DWORD src1_sel:WORD_1
	v_lshl_or_b32 v28, v8, 9, 0x7c00
	v_cndmask_b32_e32 v27, 0x7c00, v7, vcc_lo
	v_and_or_b32 v7, 0x1ff, v17, v16
	v_cmp_ne_u32_e32 vcc_lo, v21, v18
	v_cvt_f32_f16_e32 v8, v14
	v_add_nc_u32_e32 v18, 0xfffffc10, v24
	v_lshrrev_b32_e32 v21, 8, v17
	v_bfe_u32 v24, v17, 20, 11
	v_cndmask_b32_e64 v16, 0, 1, vcc_lo
	v_cmp_ne_u32_e32 vcc_lo, 0, v7
	v_cvt_f64_f32_e32 v[7:8], v8
	v_fma_f16 v12, v5, v26, -v13
	v_lshrrev_b32_e32 v17, 16, v17
	v_or_b32_e32 v16, v20, v16
	v_cndmask_b32_e64 v14, 0, 1, vcc_lo
	v_cmp_eq_u32_e32 vcc_lo, 0x40f, v4
	v_lshl_or_b32 v20, v18, 12, v2
	v_cvt_f32_f16_e32 v12, v12
	v_and_or_b32 v21, 0xffe, v21, v14
	v_cndmask_b32_e32 v4, v27, v28, vcc_lo
	v_sub_nc_u32_e32 v14, 0x3f1, v24
	v_cmp_gt_i32_e32 vcc_lo, 1, v18
	v_and_or_b32 v4, 0x8000, v15, v4
	v_med3_i32 v14, v14, 0, 13
	v_cndmask_b32_e32 v16, v20, v16, vcc_lo
	v_or_b32_e32 v20, 0x1000, v21
	v_and_b32_e32 v15, 0xffff, v23
	v_and_b32_e32 v23, 7, v16
	v_lshrrev_b32_e32 v27, v14, v20
	v_lshl_or_b32 v15, v4, 16, v15
	v_mul_f64 v[4:5], v[7:8], s[22:23]
	ds_read2_b32 v[7:8], v9 offset0:185 offset1:234
	v_cmp_lt_i32_e32 vcc_lo, 5, v23
	v_lshlrev_b32_e32 v13, v14, v27
	v_cmp_eq_u32_e64 s0, 3, v23
	v_lshrrev_b32_e32 v14, 2, v16
	v_cmp_ne_u32_e64 s1, v13, v20
	s_or_b32 vcc_lo, s0, vcc_lo
	v_add_nc_u32_e32 v20, 0xfffffc10, v24
	v_add_co_ci_u32_e32 v14, vcc_lo, 0, v14, vcc_lo
	v_cndmask_b32_e64 v16, 0, 1, s1
	v_add_co_u32 v9, vcc_lo, v10, s19
	v_add_co_ci_u32_e32 v10, vcc_lo, s24, v11, vcc_lo
	v_or_b32_e32 v16, v27, v16
	v_lshl_or_b32 v23, v20, 12, v21
	v_cmp_gt_i32_e32 vcc_lo, 1, v20
	v_cvt_f64_f32_e32 v[12:13], v12
	v_and_or_b32 v4, 0x1ff, v5, v4
	s_waitcnt lgkmcnt(0)
	v_lshrrev_b32_e32 v24, 16, v7
	v_lshrrev_b32_e32 v26, 8, v5
	v_cndmask_b32_e32 v16, v23, v16, vcc_lo
	v_cmp_gt_i32_e32 vcc_lo, 31, v18
	v_bfe_u32 v27, v5, 20, 11
	global_store_dword v[9:10], v15, off
	v_cndmask_b32_e32 v23, 0x7c00, v14, vcc_lo
	v_cmp_ne_u32_e32 vcc_lo, 0, v2
	v_and_b32_e32 v14, 7, v16
	v_cndmask_b32_e64 v2, 0, 1, vcc_lo
	v_cmp_ne_u32_e32 vcc_lo, 0, v4
	v_cmp_eq_u32_e64 s0, 3, v14
	v_lshl_or_b32 v2, v2, 9, 0x7c00
	v_cndmask_b32_e64 v4, 0, 1, vcc_lo
	v_cmp_lt_i32_e32 vcc_lo, 5, v14
	v_mul_f64 v[11:12], v[12:13], s[22:23]
	s_waitcnt vmcnt(2)
	v_mul_f16_sdwa v13, v24, v6 dst_sel:DWORD dst_unused:UNUSED_PAD src0_sel:DWORD src1_sel:WORD_1
	v_lshrrev_b32_e32 v14, 2, v16
	v_and_or_b32 v4, 0xffe, v26, v4
	v_sub_nc_u32_e32 v26, 0x3f1, v27
	s_or_b32 vcc_lo, s0, vcc_lo
	v_fmac_f16_e32 v13, v7, v6
	v_add_co_ci_u32_e32 v28, vcc_lo, 0, v14, vcc_lo
	v_or_b32_e32 v16, 0x1000, v4
	v_med3_i32 v26, v26, 0, 13
	v_cmp_eq_u32_e32 vcc_lo, 0x40f, v18
	v_cvt_f32_f16_e32 v13, v13
	v_mul_f16_sdwa v7, v7, v6 dst_sel:DWORD dst_unused:UNUSED_PAD src0_sel:DWORD src1_sel:WORD_1
	v_lshrrev_b32_e32 v29, v26, v16
	v_cndmask_b32_e32 v18, v23, v2, vcc_lo
	v_cmp_gt_i32_e32 vcc_lo, 31, v20
	v_cvt_f64_f32_e32 v[13:14], v13
	v_lshrrev_b32_e32 v23, 16, v3
	v_lshlrev_b32_e32 v2, v26, v29
	v_fma_f16 v6, v6, v24, -v7
	v_cndmask_b32_e32 v26, 0x7c00, v28, vcc_lo
	v_cmp_ne_u32_e32 vcc_lo, 0, v21
	v_and_or_b32 v3, 0x1ff, v12, v11
	v_lshrrev_b32_e32 v21, 8, v12
	v_and_or_b32 v18, 0x8000, v23, v18
	v_cvt_f32_f16_e32 v6, v6
	v_cndmask_b32_e64 v11, 0, 1, vcc_lo
	v_cmp_ne_u32_e32 vcc_lo, v2, v16
	v_add_nc_u32_e32 v16, 0xfffffc10, v27
	v_bfe_u32 v27, v12, 20, 11
	v_lshrrev_b32_e32 v12, 16, v12
	v_lshl_or_b32 v11, v11, 9, 0x7c00
	v_cndmask_b32_e64 v2, 0, 1, vcc_lo
	v_cmp_ne_u32_e32 vcc_lo, 0, v3
	v_sub_nc_u32_e32 v30, 0x3f1, v27
	v_or_b32_e32 v28, v29, v2
	v_cndmask_b32_e64 v3, 0, 1, vcc_lo
	v_cmp_eq_u32_e32 vcc_lo, 0x40f, v20
	v_lshl_or_b32 v29, v16, 12, v4
	v_and_or_b32 v21, 0xffe, v21, v3
	v_mul_f64 v[2:3], v[13:14], s[22:23]
	v_cndmask_b32_e32 v11, v26, v11, vcc_lo
	v_cmp_gt_i32_e32 vcc_lo, 1, v16
	v_med3_i32 v14, v30, 0, 13
	v_or_b32_e32 v13, 0x1000, v21
	v_and_or_b32 v11, 0x8000, v17, v11
	v_cndmask_b32_e32 v20, v29, v28, vcc_lo
	v_and_b32_e32 v17, 0xffff, v18
	v_lshrrev_b32_e32 v15, v14, v13
	v_and_b32_e32 v23, 7, v20
	v_lshrrev_b32_e32 v18, 2, v20
	v_lshlrev_b32_e32 v14, v14, v15
	v_lshl_or_b32 v17, v11, 16, v17
	v_cmp_lt_i32_e32 vcc_lo, 5, v23
	v_cmp_eq_u32_e64 s0, 3, v23
	v_cmp_ne_u32_e64 s1, v14, v13
	v_add_nc_u32_e32 v13, 0xfffffc10, v27
	v_and_or_b32 v2, 0x1ff, v3, v2
	s_or_b32 vcc_lo, s0, vcc_lo
	v_cndmask_b32_e64 v7, 0, 1, s1
	v_add_co_ci_u32_e32 v14, vcc_lo, 0, v18, vcc_lo
	v_cmp_ne_u32_e32 vcc_lo, 0, v2
	v_lshl_or_b32 v18, v13, 12, v21
	v_or_b32_e32 v15, v15, v7
	v_cvt_f64_f32_e32 v[6:7], v6
	v_lshrrev_b32_e32 v20, 8, v3
	v_cndmask_b32_e64 v2, 0, 1, vcc_lo
	v_cmp_ne_u32_e32 vcc_lo, 0, v4
	v_bfe_u32 v23, v3, 20, 11
	v_add_co_u32 v9, s1, v9, s19
	v_and_or_b32 v2, 0xffe, v20, v2
	v_cndmask_b32_e64 v4, 0, 1, vcc_lo
	v_cmp_gt_i32_e32 vcc_lo, 1, v13
	v_add_co_ci_u32_e64 v10, s1, s24, v10, s1
	v_or_b32_e32 v24, 0x1000, v2
	v_lshl_or_b32 v4, v4, 9, 0x7c00
	v_cndmask_b32_e32 v15, v18, v15, vcc_lo
	v_cmp_gt_i32_e32 vcc_lo, 31, v16
	v_sub_nc_u32_e32 v18, 0x3f1, v23
	v_and_b32_e32 v20, 7, v15
	v_cndmask_b32_e32 v14, 0x7c00, v14, vcc_lo
	v_cmp_eq_u32_e32 vcc_lo, 0x40f, v16
	v_med3_i32 v18, v18, 0, 13
	v_lshrrev_b32_e32 v16, 16, v5
	v_cmp_eq_u32_e64 s0, 3, v20
	v_lshrrev_b32_e32 v5, 2, v15
	v_cndmask_b32_e32 v11, v14, v4, vcc_lo
	v_cmp_lt_i32_e32 vcc_lo, 5, v20
	v_lshrrev_b32_e32 v4, v18, v24
	v_lshrrev_b32_e32 v14, 16, v8
	v_mul_f64 v[6:7], v[6:7], s[22:23]
	v_and_or_b32 v11, 0x8000, v16, v11
	s_or_b32 vcc_lo, s0, vcc_lo
	v_lshlrev_b32_e32 v18, v18, v4
	v_add_co_ci_u32_e32 v5, vcc_lo, 0, v5, vcc_lo
	v_cmp_ne_u32_e32 vcc_lo, 0, v21
	s_waitcnt vmcnt(1)
	v_mul_f16_sdwa v15, v14, v22 dst_sel:DWORD dst_unused:UNUSED_PAD src0_sel:DWORD src1_sel:WORD_1
	v_add_nc_u32_e32 v21, 0xfffffc10, v23
	v_and_b32_e32 v11, 0xffff, v11
	v_cndmask_b32_e64 v20, 0, 1, vcc_lo
	v_cmp_ne_u32_e32 vcc_lo, v18, v24
	v_fmac_f16_e32 v15, v8, v22
	v_mul_f16_sdwa v8, v8, v22 dst_sel:DWORD dst_unused:UNUSED_PAD src0_sel:DWORD src1_sel:WORD_1
	v_lshl_or_b32 v20, v20, 9, 0x7c00
	v_cndmask_b32_e64 v18, 0, 1, vcc_lo
	v_cmp_gt_i32_e32 vcc_lo, 31, v13
	v_cvt_f32_f16_e32 v15, v15
	v_fma_f16 v8, v22, v14, -v8
	v_or_b32_e32 v18, v4, v18
	v_cndmask_b32_e32 v23, 0x7c00, v5, vcc_lo
	v_cmp_eq_u32_e32 vcc_lo, 0x40f, v13
	v_cvt_f64_f32_e32 v[4:5], v15
	v_lshl_or_b32 v15, v21, 12, v2
	v_and_or_b32 v6, 0x1ff, v7, v6
	v_cvt_f32_f16_e32 v8, v8
	v_cndmask_b32_e32 v13, v23, v20, vcc_lo
	v_cmp_gt_i32_e32 vcc_lo, 1, v21
	v_bfe_u32 v20, v7, 20, 11
	v_and_or_b32 v12, 0x8000, v12, v13
	v_cndmask_b32_e32 v15, v15, v18, vcc_lo
	v_cmp_ne_u32_e32 vcc_lo, 0, v6
	v_lshrrev_b32_e32 v18, 8, v7
	v_sub_nc_u32_e32 v13, 0x3f1, v20
	v_add_nc_u32_e32 v20, 0xfffffc10, v20
	v_and_b32_e32 v16, 7, v15
	v_cndmask_b32_e64 v6, 0, 1, vcc_lo
	v_lshrrev_b32_e32 v15, 2, v15
	v_med3_i32 v13, v13, 0, 13
	v_cmp_lt_i32_e32 vcc_lo, 5, v16
	v_and_or_b32 v6, 0xffe, v18, v6
	v_cmp_eq_u32_e64 s0, 3, v16
	v_mul_f64 v[4:5], v[4:5], s[22:23]
	v_lshl_or_b32 v18, v12, 16, v11
	v_add_nc_u32_e32 v12, 0x800, v25
	v_or_b32_e32 v16, 0x1000, v6
	s_or_b32 vcc_lo, s0, vcc_lo
	v_add_co_ci_u32_e32 v11, vcc_lo, 0, v15, vcc_lo
	v_lshrrev_b32_e32 v23, v13, v16
	v_cmp_ne_u32_e32 vcc_lo, 0, v2
	v_lshlrev_b32_e32 v13, v13, v23
	v_cndmask_b32_e64 v2, 0, 1, vcc_lo
	v_cmp_gt_i32_e32 vcc_lo, 31, v21
	v_lshl_or_b32 v2, v2, 9, 0x7c00
	v_cndmask_b32_e32 v15, 0x7c00, v11, vcc_lo
	v_cmp_ne_u32_e32 vcc_lo, v13, v16
	ds_read2_b32 v[11:12], v12 offset0:27 offset1:76
	v_and_or_b32 v4, 0x1ff, v5, v4
	v_lshl_or_b32 v16, v20, 12, v6
	v_bfe_u32 v22, v5, 20, 11
	v_cndmask_b32_e64 v13, 0, 1, vcc_lo
	v_cmp_eq_u32_e32 vcc_lo, 0x40f, v21
	v_lshrrev_b32_e32 v21, 8, v5
	v_lshrrev_b32_e32 v5, 16, v5
	v_cndmask_b32_e32 v15, v15, v2, vcc_lo
	v_cmp_ne_u32_e32 vcc_lo, 0, v4
	v_or_b32_e32 v2, v23, v13
	v_cvt_f64_f32_e32 v[13:14], v8
	v_cndmask_b32_e64 v4, 0, 1, vcc_lo
	v_cmp_gt_i32_e32 vcc_lo, 1, v20
	v_and_or_b32 v4, 0xffe, v21, v4
	v_cndmask_b32_e32 v8, v16, v2, vcc_lo
	v_sub_nc_u32_e32 v2, 0x3f1, v22
	s_waitcnt lgkmcnt(0)
	v_lshrrev_b32_e32 v21, 16, v11
	v_lshrrev_b32_e32 v16, 16, v3
	v_or_b32_e32 v24, 0x1000, v4
	v_and_b32_e32 v23, 7, v8
	v_med3_i32 v25, v2, 0, 13
	s_waitcnt vmcnt(0)
	v_mul_f16_sdwa v26, v21, v19 dst_sel:DWORD dst_unused:UNUSED_PAD src0_sel:DWORD src1_sel:WORD_1
	v_add_co_u32 v2, vcc_lo, v9, s19
	v_add_co_ci_u32_e32 v3, vcc_lo, s24, v10, vcc_lo
	v_lshrrev_b32_e32 v28, v25, v24
	v_fmac_f16_e32 v26, v11, v19
	v_cmp_lt_i32_e32 vcc_lo, 5, v23
	v_cmp_eq_u32_e64 s0, 3, v23
	v_lshrrev_b32_e32 v8, 2, v8
	v_lshlrev_b32_e32 v23, v25, v28
	v_and_or_b32 v27, 0x8000, v16, v15
	v_cvt_f32_f16_e32 v15, v26
	s_or_b32 vcc_lo, s0, vcc_lo
	v_mul_f64 v[13:14], v[13:14], s[22:23]
	v_add_co_ci_u32_e32 v8, vcc_lo, 0, v8, vcc_lo
	v_cmp_ne_u32_e32 vcc_lo, v23, v24
	v_cvt_f64_f32_e32 v[15:16], v15
	v_add_nc_u32_e32 v22, 0xfffffc10, v22
	v_mul_f16_sdwa v11, v11, v19 dst_sel:DWORD dst_unused:UNUSED_PAD src0_sel:DWORD src1_sel:WORD_1
	v_cndmask_b32_e64 v23, 0, 1, vcc_lo
	v_cmp_ne_u32_e32 vcc_lo, 0, v6
	v_lshl_or_b32 v24, v22, 12, v4
	v_fma_f16 v11, v19, v21, -v11
	v_or_b32_e32 v23, v28, v23
	v_cndmask_b32_e64 v6, 0, 1, vcc_lo
	v_cmp_gt_i32_e32 vcc_lo, 31, v20
	v_cvt_f32_f16_e32 v11, v11
	v_lshl_or_b32 v6, v6, 9, 0x7c00
	v_cndmask_b32_e32 v8, 0x7c00, v8, vcc_lo
	v_cmp_gt_i32_e32 vcc_lo, 1, v22
	v_and_or_b32 v13, 0x1ff, v14, v13
	v_lshrrev_b32_e32 v21, 8, v14
	v_cndmask_b32_e32 v19, v24, v23, vcc_lo
	v_cmp_eq_u32_e32 vcc_lo, 0x40f, v20
	v_mul_f64 v[15:16], v[15:16], s[22:23]
	v_lshrrev_b32_e32 v20, 16, v7
	v_bfe_u32 v23, v14, 20, 11
	v_lshrrev_b32_e32 v14, 16, v14
	v_cndmask_b32_e32 v8, v8, v6, vcc_lo
	v_cvt_f64_f32_e32 v[6:7], v11
	v_cmp_ne_u32_e32 vcc_lo, 0, v13
	v_and_b32_e32 v11, 7, v19
	v_and_or_b32 v8, 0x8000, v20, v8
	v_and_b32_e32 v20, 0xffff, v27
	v_cndmask_b32_e64 v13, 0, 1, vcc_lo
	v_cmp_lt_i32_e32 vcc_lo, 5, v11
	v_cmp_eq_u32_e64 s0, 3, v11
	v_lshrrev_b32_e32 v11, 2, v19
	v_lshl_or_b32 v8, v8, 16, v20
	v_and_or_b32 v13, 0xffe, v21, v13
	v_sub_nc_u32_e32 v21, 0x3f1, v23
	s_or_b32 vcc_lo, s0, vcc_lo
	v_add_co_ci_u32_e32 v11, vcc_lo, 0, v11, vcc_lo
	v_or_b32_e32 v19, 0x1000, v13
	v_med3_i32 v20, v21, 0, 13
	v_cmp_ne_u32_e32 vcc_lo, 0, v4
	v_and_or_b32 v15, 0x1ff, v16, v15
	v_lshrrev_b32_e32 v24, 8, v16
	v_mul_f64 v[6:7], v[6:7], s[22:23]
	v_lshrrev_b32_e32 v21, v20, v19
	v_cndmask_b32_e64 v4, 0, 1, vcc_lo
	v_cmp_gt_i32_e32 vcc_lo, 31, v22
	v_bfe_u32 v25, v16, 20, 11
	v_lshlrev_b32_e32 v20, v20, v21
	v_lshl_or_b32 v4, v4, 9, 0x7c00
	v_cndmask_b32_e32 v11, 0x7c00, v11, vcc_lo
	v_cmp_ne_u32_e32 vcc_lo, 0, v15
	v_cndmask_b32_e64 v15, 0, 1, vcc_lo
	v_cmp_ne_u32_e32 vcc_lo, v20, v19
	v_add_nc_u32_e32 v20, 0xfffffc10, v23
	v_sub_nc_u32_e32 v23, 0x3f1, v25
	v_and_or_b32 v15, 0xffe, v24, v15
	v_cndmask_b32_e64 v19, 0, 1, vcc_lo
	v_cmp_eq_u32_e32 vcc_lo, 0x40f, v22
	v_med3_i32 v22, v23, 0, 13
	v_and_or_b32 v6, 0x1ff, v7, v6
	v_lshrrev_b32_e32 v23, 8, v7
	v_bfe_u32 v24, v7, 20, 11
	v_cndmask_b32_e32 v4, v11, v4, vcc_lo
	v_or_b32_e32 v11, v21, v19
	v_lshl_or_b32 v19, v20, 12, v13
	v_or_b32_e32 v21, 0x1000, v15
	v_cmp_gt_i32_e32 vcc_lo, 1, v20
	v_and_or_b32 v4, 0x8000, v5, v4
	v_lshrrev_b32_e32 v7, 16, v7
	v_cndmask_b32_e32 v11, v19, v11, vcc_lo
	v_lshrrev_b32_e32 v19, v22, v21
	v_cmp_ne_u32_e32 vcc_lo, 0, v6
	v_and_b32_e32 v26, 7, v11
	v_lshlrev_b32_e32 v22, v22, v19
	v_cndmask_b32_e64 v6, 0, 1, vcc_lo
	v_lshrrev_b32_e32 v11, 2, v11
	v_cmp_lt_i32_e32 vcc_lo, 5, v26
	v_cmp_ne_u32_e64 s0, v22, v21
	v_and_or_b32 v5, 0xffe, v23, v6
	v_sub_nc_u32_e32 v6, 0x3f1, v24
	v_add_nc_u32_e32 v23, 0xfffffc10, v25
	v_cndmask_b32_e64 v21, 0, 1, s0
	v_cmp_eq_u32_e64 s0, 3, v26
	v_or_b32_e32 v22, 0x1000, v5
	v_med3_i32 v6, v6, 0, 13
	v_lshl_or_b32 v25, v23, 12, v15
	v_or_b32_e32 v19, v19, v21
	s_or_b32 vcc_lo, s0, vcc_lo
	v_add_co_ci_u32_e32 v11, vcc_lo, 0, v11, vcc_lo
	v_lshrrev_b32_e32 v21, v6, v22
	v_cmp_gt_i32_e32 vcc_lo, 1, v23
	v_lshlrev_b32_e32 v6, v6, v21
	v_cndmask_b32_e32 v19, v25, v19, vcc_lo
	v_cmp_ne_u32_e32 vcc_lo, 0, v13
	v_cndmask_b32_e64 v13, 0, 1, vcc_lo
	v_cmp_ne_u32_e32 vcc_lo, v6, v22
	v_add_nc_u32_e32 v22, 0xfffffc10, v24
	v_and_b32_e32 v24, 7, v19
	v_lshl_or_b32 v13, v13, 9, 0x7c00
	v_cndmask_b32_e64 v6, 0, 1, vcc_lo
	v_cmp_gt_i32_e32 vcc_lo, 31, v20
	v_cmp_gt_i32_e64 s1, 1, v22
	v_cmp_eq_u32_e64 s0, 3, v24
	v_or_b32_e32 v6, v21, v6
	v_lshl_or_b32 v21, v22, 12, v5
	v_cndmask_b32_e32 v11, 0x7c00, v11, vcc_lo
	v_cmp_lt_i32_e32 vcc_lo, 5, v24
	v_cndmask_b32_e64 v6, v21, v6, s1
	v_cmp_eq_u32_e64 s1, 0x40f, v20
	s_or_b32 vcc_lo, s0, vcc_lo
	v_cndmask_b32_e64 v11, v11, v13, s1
	v_lshrrev_b32_e32 v13, 2, v19
	v_and_b32_e32 v19, 7, v6
	v_lshrrev_b32_e32 v6, 2, v6
	v_cmp_gt_i32_e64 s1, 31, v23
	v_and_or_b32 v11, 0x8000, v14, v11
	v_add_co_ci_u32_e32 v13, vcc_lo, 0, v13, vcc_lo
	v_cmp_ne_u32_e32 vcc_lo, 0, v15
	v_cmp_eq_u32_e64 s0, 3, v19
	v_and_b32_e32 v14, 0xffff, v4
	v_cndmask_b32_e64 v13, 0x7c00, v13, s1
	v_cndmask_b32_e64 v15, 0, 1, vcc_lo
	v_cmp_lt_i32_e32 vcc_lo, 5, v19
	v_lshl_or_b32 v11, v11, 16, v14
	v_lshl_or_b32 v15, v15, 9, 0x7c00
	s_or_b32 vcc_lo, s0, vcc_lo
	v_add_co_ci_u32_e32 v6, vcc_lo, 0, v6, vcc_lo
	v_cmp_ne_u32_e32 vcc_lo, 0, v5
	v_cndmask_b32_e64 v5, 0, 1, vcc_lo
	v_cmp_eq_u32_e32 vcc_lo, 0x40f, v23
	v_lshl_or_b32 v5, v5, 9, 0x7c00
	v_cndmask_b32_e32 v13, v13, v15, vcc_lo
	v_cmp_gt_i32_e32 vcc_lo, 31, v22
	v_lshrrev_b32_e32 v15, 16, v16
	v_cndmask_b32_e32 v6, 0x7c00, v6, vcc_lo
	v_cmp_eq_u32_e32 vcc_lo, 0x40f, v22
	v_and_or_b32 v13, 0x8000, v15, v13
	v_cndmask_b32_e32 v6, v6, v5, vcc_lo
	v_add_co_u32 v4, vcc_lo, v2, s19
	v_add_co_ci_u32_e32 v5, vcc_lo, s24, v3, vcc_lo
	v_and_or_b32 v14, 0x8000, v7, v6
	v_and_b32_e32 v13, 0xffff, v13
	v_add_co_u32 v6, vcc_lo, v4, s19
	v_add_co_ci_u32_e32 v7, vcc_lo, s24, v5, vcc_lo
	v_lshl_or_b32 v15, v14, 16, v13
	v_add_co_u32 v13, vcc_lo, v6, s19
	v_add_co_ci_u32_e32 v14, vcc_lo, s24, v7, vcc_lo
	global_store_dword v[9:10], v17, off
	global_store_dword v[2:3], v18, off
	;; [unrolled: 1-line block ×5, first 2 shown]
	global_load_dword v0, v[0:1], off offset:304
	v_lshrrev_b32_e32 v1, 16, v12
	s_waitcnt vmcnt(0)
	v_mul_f16_sdwa v2, v1, v0 dst_sel:DWORD dst_unused:UNUSED_PAD src0_sel:DWORD src1_sel:WORD_1
	v_mul_f16_sdwa v3, v12, v0 dst_sel:DWORD dst_unused:UNUSED_PAD src0_sel:DWORD src1_sel:WORD_1
	v_fmac_f16_e32 v2, v12, v0
	v_fma_f16 v0, v0, v1, -v3
	v_cvt_f32_f16_e32 v1, v2
	v_cvt_f32_f16_e32 v2, v0
	v_cvt_f64_f32_e32 v[0:1], v1
	v_cvt_f64_f32_e32 v[2:3], v2
	v_mul_f64 v[0:1], v[0:1], s[22:23]
	v_mul_f64 v[2:3], v[2:3], s[22:23]
	v_and_or_b32 v0, 0x1ff, v1, v0
	v_and_or_b32 v2, 0x1ff, v3, v2
	v_lshrrev_b32_e32 v4, 8, v1
	v_bfe_u32 v5, v1, 20, 11
	v_lshrrev_b32_e32 v6, 8, v3
	v_cmp_ne_u32_e32 vcc_lo, 0, v0
	v_bfe_u32 v7, v3, 20, 11
	v_lshrrev_b32_e32 v1, 16, v1
	v_lshrrev_b32_e32 v3, 16, v3
	v_cndmask_b32_e64 v0, 0, 1, vcc_lo
	v_cmp_ne_u32_e32 vcc_lo, 0, v2
	v_and_or_b32 v0, 0xffe, v4, v0
	v_cndmask_b32_e64 v2, 0, 1, vcc_lo
	v_sub_nc_u32_e32 v4, 0x3f1, v5
	v_add_nc_u32_e32 v5, 0xfffffc10, v5
	v_or_b32_e32 v8, 0x1000, v0
	v_and_or_b32 v2, 0xffe, v6, v2
	v_sub_nc_u32_e32 v6, 0x3f1, v7
	v_med3_i32 v4, v4, 0, 13
	v_add_nc_u32_e32 v7, 0xfffffc10, v7
	v_or_b32_e32 v9, 0x1000, v2
	v_med3_i32 v6, v6, 0, 13
	v_lshrrev_b32_e32 v10, v4, v8
	v_lshrrev_b32_e32 v11, v6, v9
	v_lshlrev_b32_e32 v4, v4, v10
	v_lshlrev_b32_e32 v6, v6, v11
	v_cmp_ne_u32_e32 vcc_lo, v4, v8
	v_lshl_or_b32 v8, v5, 12, v0
	v_cndmask_b32_e64 v4, 0, 1, vcc_lo
	v_cmp_ne_u32_e32 vcc_lo, v6, v9
	v_lshl_or_b32 v9, v7, 12, v2
	v_or_b32_e32 v4, v10, v4
	v_cndmask_b32_e64 v6, 0, 1, vcc_lo
	v_cmp_gt_i32_e32 vcc_lo, 1, v5
	v_or_b32_e32 v6, v11, v6
	v_cndmask_b32_e32 v4, v8, v4, vcc_lo
	v_cmp_gt_i32_e32 vcc_lo, 1, v7
	v_and_b32_e32 v8, 7, v4
	v_cndmask_b32_e32 v6, v9, v6, vcc_lo
	v_lshrrev_b32_e32 v4, 2, v4
	v_cmp_lt_i32_e32 vcc_lo, 5, v8
	v_cmp_eq_u32_e64 s0, 3, v8
	v_and_b32_e32 v9, 7, v6
	v_lshrrev_b32_e32 v6, 2, v6
	s_or_b32 vcc_lo, s0, vcc_lo
	v_cmp_lt_i32_e64 s1, 5, v9
	v_add_co_ci_u32_e32 v4, vcc_lo, 0, v4, vcc_lo
	v_cmp_eq_u32_e64 s2, 3, v9
	v_cmp_ne_u32_e32 vcc_lo, 0, v0
	v_cndmask_b32_e64 v0, 0, 1, vcc_lo
	s_or_b32 vcc_lo, s2, s1
	v_add_co_ci_u32_e32 v6, vcc_lo, 0, v6, vcc_lo
	v_cmp_ne_u32_e32 vcc_lo, 0, v2
	v_lshl_or_b32 v0, v0, 9, 0x7c00
	v_cndmask_b32_e64 v2, 0, 1, vcc_lo
	v_cmp_gt_i32_e32 vcc_lo, 31, v5
	v_lshl_or_b32 v2, v2, 9, 0x7c00
	v_cndmask_b32_e32 v4, 0x7c00, v4, vcc_lo
	v_cmp_gt_i32_e32 vcc_lo, 31, v7
	v_cndmask_b32_e32 v6, 0x7c00, v6, vcc_lo
	v_cmp_eq_u32_e32 vcc_lo, 0x40f, v5
	v_cndmask_b32_e32 v0, v4, v0, vcc_lo
	v_cmp_eq_u32_e32 vcc_lo, 0x40f, v7
	v_and_or_b32 v0, 0x8000, v1, v0
	v_cndmask_b32_e32 v2, v6, v2, vcc_lo
	v_and_b32_e32 v0, 0xffff, v0
	v_and_or_b32 v1, 0x8000, v3, v2
	v_lshl_or_b32 v2, v1, 16, v0
	v_add_co_u32 v0, vcc_lo, v13, s19
	v_add_co_ci_u32_e32 v1, vcc_lo, s24, v14, vcc_lo
	global_store_dword v[0:1], v2, off
.LBB0_15:
	s_endpgm
	.section	.rodata,"a",@progbits
	.p2align	6, 0x0
	.amdhsa_kernel bluestein_single_back_len637_dim1_half_op_CI_CI
		.amdhsa_group_segment_fixed_size 2548
		.amdhsa_private_segment_fixed_size 0
		.amdhsa_kernarg_size 104
		.amdhsa_user_sgpr_count 6
		.amdhsa_user_sgpr_private_segment_buffer 1
		.amdhsa_user_sgpr_dispatch_ptr 0
		.amdhsa_user_sgpr_queue_ptr 0
		.amdhsa_user_sgpr_kernarg_segment_ptr 1
		.amdhsa_user_sgpr_dispatch_id 0
		.amdhsa_user_sgpr_flat_scratch_init 0
		.amdhsa_user_sgpr_private_segment_size 0
		.amdhsa_wavefront_size32 1
		.amdhsa_uses_dynamic_stack 0
		.amdhsa_system_sgpr_private_segment_wavefront_offset 0
		.amdhsa_system_sgpr_workgroup_id_x 1
		.amdhsa_system_sgpr_workgroup_id_y 0
		.amdhsa_system_sgpr_workgroup_id_z 0
		.amdhsa_system_sgpr_workgroup_info 0
		.amdhsa_system_vgpr_workitem_id 0
		.amdhsa_next_free_vgpr 140
		.amdhsa_next_free_sgpr 25
		.amdhsa_reserve_vcc 1
		.amdhsa_reserve_flat_scratch 0
		.amdhsa_float_round_mode_32 0
		.amdhsa_float_round_mode_16_64 0
		.amdhsa_float_denorm_mode_32 3
		.amdhsa_float_denorm_mode_16_64 3
		.amdhsa_dx10_clamp 1
		.amdhsa_ieee_mode 1
		.amdhsa_fp16_overflow 0
		.amdhsa_workgroup_processor_mode 1
		.amdhsa_memory_ordered 1
		.amdhsa_forward_progress 0
		.amdhsa_shared_vgpr_count 0
		.amdhsa_exception_fp_ieee_invalid_op 0
		.amdhsa_exception_fp_denorm_src 0
		.amdhsa_exception_fp_ieee_div_zero 0
		.amdhsa_exception_fp_ieee_overflow 0
		.amdhsa_exception_fp_ieee_underflow 0
		.amdhsa_exception_fp_ieee_inexact 0
		.amdhsa_exception_int_div_zero 0
	.end_amdhsa_kernel
	.text
.Lfunc_end0:
	.size	bluestein_single_back_len637_dim1_half_op_CI_CI, .Lfunc_end0-bluestein_single_back_len637_dim1_half_op_CI_CI
                                        ; -- End function
	.section	.AMDGPU.csdata,"",@progbits
; Kernel info:
; codeLenInByte = 19540
; NumSgprs: 27
; NumVgprs: 140
; ScratchSize: 0
; MemoryBound: 0
; FloatMode: 240
; IeeeMode: 1
; LDSByteSize: 2548 bytes/workgroup (compile time only)
; SGPRBlocks: 3
; VGPRBlocks: 17
; NumSGPRsForWavesPerEU: 27
; NumVGPRsForWavesPerEU: 140
; Occupancy: 7
; WaveLimiterHint : 1
; COMPUTE_PGM_RSRC2:SCRATCH_EN: 0
; COMPUTE_PGM_RSRC2:USER_SGPR: 6
; COMPUTE_PGM_RSRC2:TRAP_HANDLER: 0
; COMPUTE_PGM_RSRC2:TGID_X_EN: 1
; COMPUTE_PGM_RSRC2:TGID_Y_EN: 0
; COMPUTE_PGM_RSRC2:TGID_Z_EN: 0
; COMPUTE_PGM_RSRC2:TIDIG_COMP_CNT: 0
	.text
	.p2alignl 6, 3214868480
	.fill 48, 4, 3214868480
	.type	__hip_cuid_9da01769f2f35dd1,@object ; @__hip_cuid_9da01769f2f35dd1
	.section	.bss,"aw",@nobits
	.globl	__hip_cuid_9da01769f2f35dd1
__hip_cuid_9da01769f2f35dd1:
	.byte	0                               ; 0x0
	.size	__hip_cuid_9da01769f2f35dd1, 1

	.ident	"AMD clang version 19.0.0git (https://github.com/RadeonOpenCompute/llvm-project roc-6.4.0 25133 c7fe45cf4b819c5991fe208aaa96edf142730f1d)"
	.section	".note.GNU-stack","",@progbits
	.addrsig
	.addrsig_sym __hip_cuid_9da01769f2f35dd1
	.amdgpu_metadata
---
amdhsa.kernels:
  - .args:
      - .actual_access:  read_only
        .address_space:  global
        .offset:         0
        .size:           8
        .value_kind:     global_buffer
      - .actual_access:  read_only
        .address_space:  global
        .offset:         8
        .size:           8
        .value_kind:     global_buffer
      - .actual_access:  read_only
        .address_space:  global
        .offset:         16
        .size:           8
        .value_kind:     global_buffer
      - .actual_access:  read_only
        .address_space:  global
        .offset:         24
        .size:           8
        .value_kind:     global_buffer
      - .actual_access:  read_only
        .address_space:  global
        .offset:         32
        .size:           8
        .value_kind:     global_buffer
      - .offset:         40
        .size:           8
        .value_kind:     by_value
      - .address_space:  global
        .offset:         48
        .size:           8
        .value_kind:     global_buffer
      - .address_space:  global
        .offset:         56
        .size:           8
        .value_kind:     global_buffer
      - .address_space:  global
        .offset:         64
        .size:           8
        .value_kind:     global_buffer
      - .address_space:  global
        .offset:         72
        .size:           8
        .value_kind:     global_buffer
      - .offset:         80
        .size:           4
        .value_kind:     by_value
      - .address_space:  global
        .offset:         88
        .size:           8
        .value_kind:     global_buffer
      - .address_space:  global
        .offset:         96
        .size:           8
        .value_kind:     global_buffer
    .group_segment_fixed_size: 2548
    .kernarg_segment_align: 8
    .kernarg_segment_size: 104
    .language:       OpenCL C
    .language_version:
      - 2
      - 0
    .max_flat_workgroup_size: 91
    .name:           bluestein_single_back_len637_dim1_half_op_CI_CI
    .private_segment_fixed_size: 0
    .sgpr_count:     27
    .sgpr_spill_count: 0
    .symbol:         bluestein_single_back_len637_dim1_half_op_CI_CI.kd
    .uniform_work_group_size: 1
    .uses_dynamic_stack: false
    .vgpr_count:     140
    .vgpr_spill_count: 0
    .wavefront_size: 32
    .workgroup_processor_mode: 1
amdhsa.target:   amdgcn-amd-amdhsa--gfx1030
amdhsa.version:
  - 1
  - 2
...

	.end_amdgpu_metadata
